;; amdgpu-corpus repo=ROCm/rocFFT kind=compiled arch=gfx1201 opt=O3
	.text
	.amdgcn_target "amdgcn-amd-amdhsa--gfx1201"
	.amdhsa_code_object_version 6
	.protected	bluestein_single_fwd_len1785_dim1_sp_op_CI_CI ; -- Begin function bluestein_single_fwd_len1785_dim1_sp_op_CI_CI
	.globl	bluestein_single_fwd_len1785_dim1_sp_op_CI_CI
	.p2align	8
	.type	bluestein_single_fwd_len1785_dim1_sp_op_CI_CI,@function
bluestein_single_fwd_len1785_dim1_sp_op_CI_CI: ; @bluestein_single_fwd_len1785_dim1_sp_op_CI_CI
; %bb.0:
	s_load_b128 s[8:11], s[0:1], 0x28
	v_mul_u32_u24_e32 v1, 0x227, v0
	s_mov_b32 s2, exec_lo
	v_mov_b32_e32 v125, 0
	s_delay_alu instid0(VALU_DEP_2) | instskip(NEXT) | instid1(VALU_DEP_1)
	v_lshrrev_b32_e32 v1, 16, v1
	v_add_nc_u32_e32 v124, ttmp9, v1
	s_wait_kmcnt 0x0
	s_delay_alu instid0(VALU_DEP_1)
	v_cmpx_gt_u64_e64 s[8:9], v[124:125]
	s_cbranch_execz .LBB0_23
; %bb.1:
	s_clause 0x1
	s_load_b64 s[8:9], s[0:1], 0x0
	s_load_b64 s[12:13], s[0:1], 0x38
	v_mul_lo_u16 v1, 0x77, v1
	s_delay_alu instid0(VALU_DEP_1) | instskip(NEXT) | instid1(VALU_DEP_1)
	v_sub_nc_u16 v0, v0, v1
	v_and_b32_e32 v128, 0xffff, v0
	v_cmp_gt_u16_e32 vcc_lo, 0x69, v0
	s_delay_alu instid0(VALU_DEP_2)
	v_lshlrev_b32_e32 v127, 3, v128
	s_and_saveexec_b32 s3, vcc_lo
	s_cbranch_execz .LBB0_3
; %bb.2:
	s_load_b64 s[4:5], s[0:1], 0x18
	s_delay_alu instid0(VALU_DEP_1)
	v_add_nc_u32_e32 v70, 0x400, v127
	v_add_nc_u32_e32 v72, 0x1000, v127
	;; [unrolled: 1-line block ×3, first 2 shown]
	s_wait_kmcnt 0x0
	s_load_b128 s[4:7], s[4:5], 0x0
	s_wait_kmcnt 0x0
	v_mad_co_u64_u32 v[0:1], null, s6, v124, 0
	v_mad_co_u64_u32 v[2:3], null, s4, v128, 0
	s_delay_alu instid0(VALU_DEP_1) | instskip(NEXT) | instid1(VALU_DEP_1)
	v_mad_co_u64_u32 v[4:5], null, s7, v124, v[1:2]
	v_mad_co_u64_u32 v[5:6], null, s5, v128, v[3:4]
	v_mov_b32_e32 v1, v4
	s_mul_u64 s[4:5], s[4:5], 0x348
	s_delay_alu instid0(VALU_DEP_1) | instskip(NEXT) | instid1(VALU_DEP_3)
	v_lshlrev_b64_e32 v[0:1], 3, v[0:1]
	v_mov_b32_e32 v3, v5
	s_delay_alu instid0(VALU_DEP_1) | instskip(NEXT) | instid1(VALU_DEP_3)
	v_lshlrev_b64_e32 v[2:3], 3, v[2:3]
	v_add_co_u32 v10, s2, s10, v0
	s_delay_alu instid0(VALU_DEP_1)
	v_add_co_ci_u32_e64 v11, s2, s11, v1, s2
	s_clause 0x3
	global_load_b64 v[0:1], v127, s[8:9]
	global_load_b64 v[4:5], v127, s[8:9] offset:840
	global_load_b64 v[6:7], v127, s[8:9] offset:1680
	;; [unrolled: 1-line block ×3, first 2 shown]
	v_add_co_u32 v2, s2, v10, v2
	s_wait_alu 0xf1ff
	v_add_co_ci_u32_e64 v3, s2, v11, v3, s2
	s_clause 0x3
	global_load_b64 v[12:13], v127, s[8:9] offset:3360
	global_load_b64 v[14:15], v127, s[8:9] offset:4200
	;; [unrolled: 1-line block ×4, first 2 shown]
	s_wait_alu 0xfffe
	v_add_co_u32 v10, s2, v2, s4
	s_wait_alu 0xf1ff
	v_add_co_ci_u32_e64 v11, s2, s5, v3, s2
	s_clause 0x3
	global_load_b64 v[22:23], v127, s[8:9] offset:6720
	global_load_b64 v[24:25], v127, s[8:9] offset:7560
	;; [unrolled: 1-line block ×4, first 2 shown]
	v_add_co_u32 v20, s2, v10, s4
	s_wait_alu 0xf1ff
	v_add_co_ci_u32_e64 v21, s2, s5, v11, s2
	s_clause 0x2
	global_load_b64 v[32:33], v127, s[8:9] offset:10080
	global_load_b64 v[34:35], v127, s[8:9] offset:10920
	;; [unrolled: 1-line block ×3, first 2 shown]
	v_add_co_u32 v30, s2, v20, s4
	s_wait_alu 0xf1ff
	v_add_co_ci_u32_e64 v31, s2, s5, v21, s2
	s_delay_alu instid0(VALU_DEP_2) | instskip(SKIP_1) | instid1(VALU_DEP_2)
	v_add_co_u32 v38, s2, v30, s4
	s_wait_alu 0xf1ff
	v_add_co_ci_u32_e64 v39, s2, s5, v31, s2
	s_clause 0x3
	global_load_b64 v[2:3], v[2:3], off
	global_load_b64 v[10:11], v[10:11], off
	global_load_b64 v[20:21], v[20:21], off
	global_load_b64 v[30:31], v[30:31], off
	v_add_co_u32 v40, s2, v38, s4
	s_wait_alu 0xf1ff
	v_add_co_ci_u32_e64 v41, s2, s5, v39, s2
	global_load_b64 v[38:39], v[38:39], off
	v_add_co_u32 v42, s2, v40, s4
	s_wait_alu 0xf1ff
	v_add_co_ci_u32_e64 v43, s2, s5, v41, s2
	global_load_b64 v[40:41], v[40:41], off
	;; [unrolled: 4-line block ×11, first 2 shown]
	v_add_co_u32 v62, s2, v60, s4
	s_wait_alu 0xf1ff
	v_add_co_ci_u32_e64 v63, s2, s5, v61, s2
	global_load_b64 v[64:65], v127, s[8:9] offset:12600
	global_load_b64 v[60:61], v[60:61], off
	global_load_b64 v[66:67], v127, s[8:9] offset:13440
	global_load_b64 v[62:63], v[62:63], off
	v_add_nc_u32_e32 v71, 0xc00, v127
	v_add_nc_u32_e32 v74, 0x2000, v127
	s_wait_loadcnt 0x12
	v_dual_mul_f32 v68, v3, v1 :: v_dual_add_nc_u32 v75, 0x2400, v127
	v_mul_f32_e32 v69, v2, v1
	v_add_nc_u32_e32 v73, 0x1800, v127
	s_wait_loadcnt 0x11
	s_delay_alu instid0(VALU_DEP_3) | instskip(NEXT) | instid1(VALU_DEP_3)
	v_dual_mul_f32 v1, v11, v5 :: v_dual_fmac_f32 v68, v2, v0
	v_fma_f32 v69, v3, v0, -v69
	v_mul_f32_e32 v0, v10, v5
	s_delay_alu instid0(VALU_DEP_3) | instskip(SKIP_2) | instid1(VALU_DEP_3)
	v_fmac_f32_e32 v1, v10, v4
	s_wait_loadcnt 0xf
	v_mul_f32_e32 v5, v31, v9
	v_fma_f32 v2, v11, v4, -v0
	s_wait_loadcnt 0xe
	v_dual_mul_f32 v0, v39, v13 :: v_dual_mul_f32 v3, v21, v7
	v_mul_f32_e32 v7, v20, v7
	ds_store_2addr_b64 v127, v[68:69], v[1:2] offset1:105
	s_wait_loadcnt 0xd
	v_dual_mul_f32 v2, v41, v15 :: v_dual_mul_f32 v9, v30, v9
	v_fma_f32 v4, v21, v6, -v7
	v_fmac_f32_e32 v5, v30, v8
	v_dual_fmac_f32 v0, v38, v12 :: v_dual_fmac_f32 v3, v20, v6
	s_delay_alu instid0(VALU_DEP_4)
	v_fmac_f32_e32 v2, v40, v14
	v_fma_f32 v6, v31, v8, -v9
	s_wait_loadcnt 0xa
	v_dual_mul_f32 v7, v38, v13 :: v_dual_mul_f32 v8, v47, v23
	v_mul_f32_e32 v9, v46, v23
	ds_store_2addr_b64 v70, v[3:4], v[5:6] offset0:82 offset1:187
	v_dual_mul_f32 v4, v43, v17 :: v_dual_mul_f32 v3, v40, v15
	v_fma_f32 v1, v39, v12, -v7
	v_mul_f32_e32 v6, v45, v19
	s_delay_alu instid0(VALU_DEP_3) | instskip(NEXT) | instid1(VALU_DEP_4)
	v_dual_mul_f32 v7, v44, v19 :: v_dual_fmac_f32 v4, v42, v16
	v_fma_f32 v3, v41, v14, -v3
	v_fmac_f32_e32 v8, v46, v22
	s_delay_alu instid0(VALU_DEP_4)
	v_fmac_f32_e32 v6, v44, v18
	ds_store_2addr_b64 v71, v[0:1], v[2:3] offset0:36 offset1:141
	s_wait_loadcnt 0x9
	v_mul_f32_e32 v1, v48, v25
	v_mul_f32_e32 v0, v49, v25
	;; [unrolled: 1-line block ×3, first 2 shown]
	v_fma_f32 v7, v45, v18, -v7
	s_wait_loadcnt 0x8
	v_mul_f32_e32 v2, v51, v27
	v_fma_f32 v1, v49, v24, -v1
	v_fmac_f32_e32 v0, v48, v24
	v_fma_f32 v5, v43, v16, -v5
	s_wait_loadcnt 0x5
	v_mul_f32_e32 v10, v57, v35
	v_mul_f32_e32 v11, v56, v35
	ds_store_2addr_b64 v72, v[4:5], v[6:7] offset0:118 offset1:223
	v_mul_f32_e32 v5, v52, v29
	v_mul_f32_e32 v6, v55, v33
	;; [unrolled: 1-line block ×3, first 2 shown]
	v_dual_mul_f32 v4, v53, v29 :: v_dual_mul_f32 v3, v50, v27
	v_fmac_f32_e32 v2, v50, v26
	s_wait_loadcnt 0x4
	v_mul_f32_e32 v12, v59, v37
	v_dual_fmac_f32 v10, v56, v34 :: v_dual_mul_f32 v13, v58, v37
	s_wait_loadcnt 0x2
	v_mul_f32_e32 v14, v61, v65
	v_mul_f32_e32 v15, v60, v65
	s_wait_loadcnt 0x0
	v_mul_f32_e32 v17, v62, v67
	v_fmac_f32_e32 v6, v54, v32
	v_mul_f32_e32 v16, v63, v67
	v_fma_f32 v9, v47, v22, -v9
	v_fmac_f32_e32 v4, v52, v28
	v_fma_f32 v3, v51, v26, -v3
	v_fma_f32 v5, v53, v28, -v5
	;; [unrolled: 1-line block ×4, first 2 shown]
	v_fmac_f32_e32 v12, v58, v36
	v_fma_f32 v13, v59, v36, -v13
	v_fmac_f32_e32 v14, v60, v64
	v_fma_f32 v15, v61, v64, -v15
	;; [unrolled: 2-line block ×3, first 2 shown]
	ds_store_2addr_b64 v73, v[8:9], v[0:1] offset0:72 offset1:177
	ds_store_2addr_b64 v74, v[2:3], v[4:5] offset0:26 offset1:131
	;; [unrolled: 1-line block ×4, first 2 shown]
	ds_store_b64 v127, v[16:17] offset:13440
.LBB0_3:
	s_or_b32 exec_lo, exec_lo, s3
	s_clause 0x1
	s_load_b64 s[4:5], s[0:1], 0x20
	s_load_b64 s[2:3], s[0:1], 0x8
	v_mov_b32_e32 v0, 0
	v_mov_b32_e32 v1, 0
                                        ; kill: def $vgpr2 killed $sgpr0 killed $exec
	global_wb scope:SCOPE_SE
	s_wait_dscnt 0x0
	s_wait_kmcnt 0x0
	s_barrier_signal -1
	s_barrier_wait -1
	global_inv scope:SCOPE_SE
                                        ; implicit-def: $vgpr12
                                        ; implicit-def: $vgpr8
                                        ; implicit-def: $vgpr32
                                        ; implicit-def: $vgpr6
                                        ; implicit-def: $vgpr22
                                        ; implicit-def: $vgpr30
                                        ; implicit-def: $vgpr18
                                        ; implicit-def: $vgpr26
	s_and_saveexec_b32 s0, vcc_lo
	s_cbranch_execz .LBB0_5
; %bb.4:
	v_add_nc_u32_e32 v4, 0x400, v127
	v_add_nc_u32_e32 v5, 0xc00, v127
	;; [unrolled: 1-line block ×3, first 2 shown]
	ds_load_2addr_b64 v[0:3], v127 offset1:105
	v_add_nc_u32_e32 v7, 0x2400, v127
	ds_load_2addr_b64 v[24:27], v4 offset0:82 offset1:187
	ds_load_2addr_b64 v[16:19], v5 offset0:36 offset1:141
	v_add_nc_u32_e32 v4, 0x1800, v127
	v_add_nc_u32_e32 v5, 0x2000, v127
	;; [unrolled: 1-line block ×3, first 2 shown]
	ds_load_2addr_b64 v[28:31], v6 offset0:118 offset1:223
	ds_load_2addr_b64 v[20:23], v4 offset0:72 offset1:177
	ds_load_2addr_b64 v[12:15], v5 offset0:26 offset1:131
	ds_load_2addr_b64 v[8:11], v7 offset0:108 offset1:213
	ds_load_2addr_b64 v[4:7], v32 offset0:62 offset1:167
	ds_load_b64 v[32:33], v127 offset:13440
.LBB0_5:
	s_wait_alu 0xfffe
	s_or_b32 exec_lo, exec_lo, s0
	s_wait_dscnt 0x0
	v_dual_sub_f32 v46, v3, v33 :: v_dual_sub_f32 v93, v2, v32
	v_add_f32_e32 v48, v32, v2
	v_dual_add_f32 v50, v33, v3 :: v_dual_add_f32 v49, v6, v24
	s_delay_alu instid0(VALU_DEP_3) | instskip(NEXT) | instid1(VALU_DEP_4)
	v_dual_mul_f32 v64, 0xbeb8f4ab, v46 :: v_dual_sub_f32 v105, v25, v7
	v_mul_f32_e32 v69, 0xbeb8f4ab, v93
	v_mul_f32_e32 v77, 0xbf2c7751, v46
	v_dual_sub_f32 v111, v19, v9 :: v_dual_add_f32 v56, v8, v18
	s_delay_alu instid0(VALU_DEP_4) | instskip(NEXT) | instid1(VALU_DEP_4)
	v_dual_mul_f32 v65, 0xbf2c7751, v105 :: v_dual_add_f32 v52, v4, v26
	v_fma_f32 v35, 0x3f6eb680, v50, -v69
	v_fmamk_f32 v34, v48, 0x3f6eb680, v64
	v_dual_fmamk_f32 v36, v48, 0x3f3d2fb0, v77 :: v_dual_add_f32 v51, v7, v25
	s_delay_alu instid0(VALU_DEP_4) | instskip(NEXT) | instid1(VALU_DEP_4)
	v_dual_fmamk_f32 v38, v49, 0x3f3d2fb0, v65 :: v_dual_sub_f32 v107, v27, v5
	v_add_f32_e32 v35, v35, v1
	s_delay_alu instid0(VALU_DEP_4) | instskip(NEXT) | instid1(VALU_DEP_4)
	v_dual_sub_f32 v91, v24, v6 :: v_dual_add_f32 v34, v34, v0
	v_dual_mul_f32 v81, 0xbf2c7751, v93 :: v_dual_add_f32 v36, v36, v0
	s_delay_alu instid0(VALU_DEP_4) | instskip(NEXT) | instid1(VALU_DEP_3)
	v_dual_mul_f32 v66, 0xbf65296c, v107 :: v_dual_sub_f32 v97, v26, v4
	v_dual_mul_f32 v67, 0xbf2c7751, v91 :: v_dual_add_f32 v34, v38, v34
	s_delay_alu instid0(VALU_DEP_3) | instskip(SKIP_1) | instid1(VALU_DEP_4)
	v_fma_f32 v37, 0x3f3d2fb0, v50, -v81
	v_mul_f32_e32 v88, 0xbf7ee86f, v91
	v_dual_fmamk_f32 v40, v52, 0x3ee437d1, v66 :: v_dual_add_f32 v53, v5, v27
	s_delay_alu instid0(VALU_DEP_4) | instskip(NEXT) | instid1(VALU_DEP_4)
	v_fma_f32 v38, 0x3f3d2fb0, v51, -v67
	v_add_f32_e32 v37, v37, v1
	v_mul_f32_e32 v80, 0xbf7ee86f, v105
	v_fma_f32 v39, 0x3dbcf732, v51, -v88
	v_dual_mul_f32 v68, 0xbf65296c, v97 :: v_dual_sub_f32 v109, v17, v11
	s_delay_alu instid0(VALU_DEP_3) | instskip(NEXT) | instid1(VALU_DEP_3)
	v_dual_add_f32 v35, v38, v35 :: v_dual_fmamk_f32 v38, v49, 0x3dbcf732, v80
	v_dual_add_f32 v37, v39, v37 :: v_dual_add_f32 v34, v40, v34
	v_mul_f32_e32 v87, 0xbf4c4adb, v107
	v_dual_mul_f32 v89, 0xbf4c4adb, v97 :: v_dual_add_f32 v54, v10, v16
	s_delay_alu instid0(VALU_DEP_4) | instskip(SKIP_4) | instid1(VALU_DEP_4)
	v_add_f32_e32 v36, v38, v36
	v_fma_f32 v38, 0x3ee437d1, v53, -v68
	v_mul_f32_e32 v70, 0xbf7ee86f, v109
	v_dual_add_f32 v55, v11, v17 :: v_dual_sub_f32 v104, v18, v8
	v_fma_f32 v39, 0xbf1a4643, v53, -v89
	v_add_f32_e32 v35, v38, v35
	s_delay_alu instid0(VALU_DEP_4) | instskip(SKIP_2) | instid1(VALU_DEP_3)
	v_dual_sub_f32 v101, v16, v10 :: v_dual_fmamk_f32 v40, v54, 0x3dbcf732, v70
	v_fmamk_f32 v38, v52, 0xbf1a4643, v87
	v_dual_mul_f32 v90, 0xbe3c28d5, v109 :: v_dual_add_f32 v57, v9, v19
	v_mul_f32_e32 v71, 0xbf7ee86f, v101
	v_dual_mul_f32 v72, 0xbf763a35, v111 :: v_dual_mul_f32 v73, 0xbf763a35, v104
	s_delay_alu instid0(VALU_DEP_4) | instskip(SKIP_1) | instid1(VALU_DEP_4)
	v_dual_add_f32 v36, v38, v36 :: v_dual_add_f32 v37, v39, v37
	v_add_f32_e32 v34, v40, v34
	v_fma_f32 v38, 0x3dbcf732, v55, -v71
	v_mul_f32_e32 v92, 0xbe3c28d5, v101
	v_fmamk_f32 v41, v56, 0xbe8c1d8e, v72
	v_dual_fmamk_f32 v39, v54, 0xbf7ba420, v90 :: v_dual_sub_f32 v114, v29, v15
	v_add_f32_e32 v59, v15, v29
	v_add_f32_e32 v35, v38, v35
	v_fma_f32 v40, 0xbf7ba420, v55, -v92
	v_fma_f32 v38, 0xbe8c1d8e, v57, -v73
	v_mul_f32_e32 v98, 0x3f06c442, v104
	v_add_f32_e32 v34, v41, v34
	s_delay_alu instid0(VALU_DEP_4)
	v_dual_add_f32 v36, v39, v36 :: v_dual_add_f32 v37, v40, v37
	v_add_f32_e32 v58, v14, v28
	v_dual_add_f32 v35, v38, v35 :: v_dual_mul_f32 v74, 0xbf4c4adb, v114
	v_sub_f32_e32 v106, v28, v14
	v_fma_f32 v40, 0xbf59a7d5, v57, -v98
	v_mul_f32_e32 v94, 0x3f06c442, v111
	v_mul_f32_e32 v95, 0x3f763a35, v114
	v_fmamk_f32 v41, v58, 0xbf1a4643, v74
	v_mul_f32_e32 v75, 0xbf4c4adb, v106
	v_add_f32_e32 v37, v40, v37
	v_dual_fmamk_f32 v39, v56, 0xbf59a7d5, v94 :: v_dual_sub_f32 v112, v31, v13
	v_add_f32_e32 v61, v13, v31
	s_delay_alu instid0(VALU_DEP_4) | instskip(SKIP_1) | instid1(VALU_DEP_4)
	v_fma_f32 v38, 0xbf1a4643, v59, -v75
	v_add_f32_e32 v34, v41, v34
	v_add_f32_e32 v36, v39, v36
	v_dual_add_f32 v60, v12, v30 :: v_dual_mul_f32 v99, 0x3f65296c, v112
	s_delay_alu instid0(VALU_DEP_4) | instskip(SKIP_1) | instid1(VALU_DEP_3)
	v_add_f32_e32 v35, v38, v35
	v_dual_fmamk_f32 v38, v58, 0xbe8c1d8e, v95 :: v_dual_sub_f32 v113, v21, v23
	v_dual_sub_f32 v108, v30, v12 :: v_dual_fmamk_f32 v41, v60, 0x3ee437d1, v99
	v_sub_f32_e32 v110, v20, v22
	s_delay_alu instid0(VALU_DEP_3) | instskip(SKIP_1) | instid1(VALU_DEP_4)
	v_dual_add_f32 v36, v38, v36 :: v_dual_mul_f32 v79, 0xbe3c28d5, v113
	v_mul_f32_e32 v100, 0x3f763a35, v106
	v_dual_mul_f32 v78, 0xbf06c442, v108 :: v_dual_add_f32 v63, v23, v21
	s_delay_alu instid0(VALU_DEP_3) | instskip(NEXT) | instid1(VALU_DEP_3)
	v_dual_add_f32 v36, v41, v36 :: v_dual_mul_f32 v103, 0x3eb8f4ab, v110
	v_fma_f32 v39, 0xbe8c1d8e, v59, -v100
	s_delay_alu instid0(VALU_DEP_3)
	v_fma_f32 v38, 0xbf59a7d5, v61, -v78
	v_mul_f32_e32 v76, 0xbf06c442, v112
	v_add_f32_e32 v62, v22, v20
	v_fma_f32 v41, 0x3f6eb680, v63, -v103
	v_dual_mul_f32 v102, 0x3f65296c, v108 :: v_dual_add_f32 v37, v39, v37
	v_dual_add_f32 v35, v38, v35 :: v_dual_mul_f32 v86, 0xbe3c28d5, v110
	v_mul_f32_e32 v96, 0x3eb8f4ab, v113
	s_delay_alu instid0(VALU_DEP_3)
	v_fma_f32 v38, 0x3ee437d1, v61, -v102
	v_fmamk_f32 v40, v60, 0xbf59a7d5, v76
	global_wb scope:SCOPE_SE
	v_fma_f32 v39, 0xbf7ba420, v63, -v86
	s_barrier_signal -1
	v_dual_add_f32 v37, v38, v37 :: v_dual_add_f32 v34, v40, v34
	s_delay_alu instid0(VALU_DEP_2) | instskip(NEXT) | instid1(VALU_DEP_2)
	v_dual_fmamk_f32 v38, v62, 0xbf7ba420, v79 :: v_dual_add_f32 v85, v39, v35
	v_dual_fmamk_f32 v40, v62, 0x3f6eb680, v96 :: v_dual_add_f32 v83, v41, v37
	s_barrier_wait -1
	s_delay_alu instid0(VALU_DEP_2)
	v_add_f32_e32 v84, v38, v34
	global_inv scope:SCOPE_SE
	v_add_f32_e32 v82, v40, v36
	s_and_saveexec_b32 s0, vcc_lo
	s_cbranch_execz .LBB0_7
; %bb.6:
	v_mul_f32_e32 v150, 0xbf4c4adb, v46
	v_mul_f32_e32 v42, 0xbf1a4643, v50
	;; [unrolled: 1-line block ×6, first 2 shown]
	v_fmamk_f32 v40, v93, 0x3f4c4adb, v42
	v_mul_f32_e32 v131, 0xbf65296c, v46
	v_mul_f32_e32 v122, 0x3ee437d1, v50
	v_fmamk_f32 v38, v49, 0xbf1a4643, v130
	v_mul_f32_e32 v123, 0x3f2c7751, v111
	v_mul_f32_e32 v118, 0x3f3d2fb0, v57
	;; [unrolled: 3-line block ×3, first 2 shown]
	v_mul_f32_e32 v141, 0xbe8c1d8e, v61
	s_delay_alu instid0(VALU_DEP_4)
	v_dual_mul_f32 v152, 0x3f763a35, v105 :: v_dual_add_f32 v37, v37, v0
	v_fmamk_f32 v34, v93, 0x3f65296c, v122
	v_mul_f32_e32 v47, 0x3dbcf732, v57
	v_mul_f32_e32 v133, 0xbf7ee86f, v112
	;; [unrolled: 1-line block ×3, first 2 shown]
	v_add_f32_e32 v37, v38, v37
	v_dual_mul_f32 v121, 0xbf1a4643, v51 :: v_dual_add_f32 v34, v34, v1
	v_fmamk_f32 v36, v97, 0xbe3c28d5, v120
	v_fmamk_f32 v38, v54, 0xbe8c1d8e, v126
	v_mul_f32_e32 v155, 0xbf06c442, v109
	s_delay_alu instid0(VALU_DEP_4) | instskip(SKIP_3) | instid1(VALU_DEP_4)
	v_fmamk_f32 v35, v91, 0x3f4c4adb, v121
	v_mul_f32_e32 v119, 0xbe8c1d8e, v55
	v_mul_f32_e32 v137, 0xbf1a4643, v57
	;; [unrolled: 1-line block ×3, first 2 shown]
	v_dual_mul_f32 v157, 0x3ee437d1, v63 :: v_dual_add_f32 v34, v35, v34
	v_mul_f32_e32 v117, 0x3f6eb680, v59
	v_fmamk_f32 v35, v101, 0xbf763a35, v119
	v_fmamk_f32 v139, v104, 0x3f4c4adb, v137
	s_delay_alu instid0(VALU_DEP_4) | instskip(SKIP_3) | instid1(VALU_DEP_4)
	v_dual_fmamk_f32 v41, v54, 0xbf59a7d5, v155 :: v_dual_add_f32 v34, v36, v34
	v_mul_f32_e32 v115, 0xbf59a7d5, v63
	v_mul_f32_e32 v158, 0xbf2c7751, v114
	v_dual_mul_f32 v159, 0xbe3c28d5, v112 :: v_dual_mul_f32 v138, 0xbe3c28d5, v46
	v_dual_add_f32 v34, v35, v34 :: v_dual_fmamk_f32 v35, v106, 0x3eb8f4ab, v117
	v_mul_f32_e32 v129, 0x3e3c28d5, v107
	v_mul_f32_e32 v160, 0x3f65296c, v113
	;; [unrolled: 1-line block ×4, first 2 shown]
	v_fmac_f32_e32 v121, 0xbf4c4adb, v91
	v_fmamk_f32 v39, v52, 0xbf7ba420, v129
	v_mul_f32_e32 v176, 0x3f763a35, v107
	v_fmac_f32_e32 v120, 0x3e3c28d5, v97
	v_fmac_f32_e32 v119, 0x3f763a35, v101
	v_fmac_f32_e32 v117, 0xbeb8f4ab, v106
	v_add_f32_e32 v37, v39, v37
	v_fmamk_f32 v39, v56, 0x3f3d2fb0, v123
	v_fmamk_f32 v36, v104, 0xbf2c7751, v118
	v_mul_f32_e32 v136, 0x3f3d2fb0, v55
	s_delay_alu instid0(VALU_DEP_4) | instskip(NEXT) | instid1(VALU_DEP_3)
	v_dual_mul_f32 v140, 0x3ee437d1, v59 :: v_dual_add_f32 v37, v38, v37
	v_dual_mul_f32 v145, 0x3f2c7751, v109 :: v_dual_add_f32 v34, v36, v34
	v_mul_f32_e32 v167, 0xbeb8f4ab, v108
	v_mul_f32_e32 v165, 0xbe3c28d5, v104
	s_delay_alu instid0(VALU_DEP_4) | instskip(NEXT) | instid1(VALU_DEP_4)
	v_add_f32_e32 v37, v39, v37
	v_dual_fmamk_f32 v39, v49, 0xbe8c1d8e, v152 :: v_dual_add_f32 v34, v35, v34
	v_fmamk_f32 v35, v110, 0x3f06c442, v115
	v_mul_f32_e32 v116, 0x3dbcf732, v61
	v_mul_f32_e32 v125, 0xbeb8f4ab, v114
	v_fmamk_f32 v146, v54, 0x3f3d2fb0, v145
	v_fmamk_f32 v168, v61, 0x3f6eb680, v167
	v_fmac_f32_e32 v115, 0xbf06c442, v110
	v_fmamk_f32 v36, v108, 0x3f7ee86f, v116
	v_mul_f32_e32 v169, 0xbf7ee86f, v93
	v_mul_f32_e32 v171, 0x3f763a35, v97
	v_fmac_f32_e32 v122, 0xbf65296c, v93
	v_mul_f32_e32 v170, 0xbe3c28d5, v91
	v_dual_add_f32 v34, v36, v34 :: v_dual_mul_f32 v177, 0xbf65296c, v104
	v_fmac_f32_e32 v118, 0x3f2c7751, v104
	s_delay_alu instid0(VALU_DEP_2) | instskip(SKIP_2) | instid1(VALU_DEP_3)
	v_dual_add_f32 v2, v2, v0 :: v_dual_add_f32 v35, v35, v34
	v_fmamk_f32 v34, v58, 0x3f6eb680, v125
	v_fmac_f32_e32 v116, 0xbf7ee86f, v108
	v_add_f32_e32 v2, v24, v2
	s_delay_alu instid0(VALU_DEP_3) | instskip(NEXT) | instid1(VALU_DEP_2)
	v_dual_add_f32 v34, v34, v37 :: v_dual_fmamk_f32 v37, v60, 0x3dbcf732, v133
	v_add_f32_e32 v2, v26, v2
	s_delay_alu instid0(VALU_DEP_2) | instskip(NEXT) | instid1(VALU_DEP_2)
	v_dual_add_f32 v34, v37, v34 :: v_dual_fmamk_f32 v37, v62, 0xbf59a7d5, v132
	v_add_f32_e32 v2, v16, v2
	s_delay_alu instid0(VALU_DEP_2) | instskip(SKIP_1) | instid1(VALU_DEP_2)
	v_dual_add_f32 v34, v37, v34 :: v_dual_fmamk_f32 v37, v48, 0xbf1a4643, v150
	v_fmac_f32_e32 v42, 0xbf4c4adb, v93
	v_dual_add_f32 v2, v18, v2 :: v_dual_add_f32 v37, v37, v0
	s_delay_alu instid0(VALU_DEP_2) | instskip(NEXT) | instid1(VALU_DEP_2)
	v_add_f32_e32 v42, v42, v1
	v_dual_add_f32 v2, v28, v2 :: v_dual_add_f32 v37, v39, v37
	s_delay_alu instid0(VALU_DEP_1) | instskip(NEXT) | instid1(VALU_DEP_1)
	v_dual_fmamk_f32 v39, v52, 0x3f6eb680, v154 :: v_dual_add_f32 v2, v30, v2
	v_add_f32_e32 v39, v39, v37
	v_fmamk_f32 v36, v91, 0xbf763a35, v43
	v_add_f32_e32 v38, v40, v1
	v_mul_f32_e32 v40, 0xbf7ba420, v50
	v_fmac_f32_e32 v43, 0x3f763a35, v91
	v_add_f32_e32 v39, v41, v39
	v_fmamk_f32 v41, v56, 0x3dbcf732, v156
	v_add_f32_e32 v36, v36, v38
	v_fmamk_f32 v38, v97, 0x3eb8f4ab, v44
	v_fmac_f32_e32 v44, 0xbeb8f4ab, v97
	v_fma_f32 v131, 0x3ee437d1, v48, -v131
	v_add_f32_e32 v39, v41, v39
	v_fmamk_f32 v41, v58, 0x3f3d2fb0, v158
	v_dual_add_f32 v36, v38, v36 :: v_dual_mul_f32 v45, 0xbf59a7d5, v55
	s_delay_alu instid0(VALU_DEP_2) | instskip(SKIP_1) | instid1(VALU_DEP_3)
	v_dual_add_f32 v2, v20, v2 :: v_dual_add_f32 v39, v41, v39
	v_fmamk_f32 v41, v60, 0xbf7ba420, v159
	v_fmamk_f32 v38, v101, 0x3f06c442, v45
	s_delay_alu instid0(VALU_DEP_2) | instskip(NEXT) | instid1(VALU_DEP_2)
	v_dual_add_f32 v2, v22, v2 :: v_dual_add_f32 v39, v41, v39
	v_add_f32_e32 v36, v38, v36
	v_fmamk_f32 v38, v104, 0xbf7ee86f, v47
	v_fmamk_f32 v41, v62, 0x3ee437d1, v160
	v_dual_mul_f32 v135, 0xbf59a7d5, v53 :: v_dual_add_f32 v42, v43, v42
	s_delay_alu instid0(VALU_DEP_3) | instskip(SKIP_1) | instid1(VALU_DEP_3)
	v_dual_fmac_f32 v45, 0xbf06c442, v101 :: v_dual_add_f32 v36, v38, v36
	v_mul_f32_e32 v151, 0x3f3d2fb0, v59
	v_dual_fmac_f32 v47, 0x3f7ee86f, v104 :: v_dual_add_f32 v42, v44, v42
	v_fma_f32 v150, 0xbf1a4643, v48, -v150
	v_add_f32_e32 v12, v12, v2
	s_delay_alu instid0(VALU_DEP_3) | instskip(NEXT) | instid1(VALU_DEP_1)
	v_dual_fmamk_f32 v38, v106, 0x3f2c7751, v151 :: v_dual_add_f32 v45, v45, v42
	v_dual_add_f32 v36, v38, v36 :: v_dual_mul_f32 v153, 0xbf7ba420, v61
	s_delay_alu instid0(VALU_DEP_2) | instskip(SKIP_1) | instid1(VALU_DEP_1)
	v_dual_add_f32 v45, v47, v45 :: v_dual_add_f32 v150, v150, v0
	v_fmac_f32_e32 v151, 0xbf2c7751, v106
	v_dual_fmamk_f32 v38, v108, 0x3e3c28d5, v153 :: v_dual_add_f32 v45, v151, v45
	s_delay_alu instid0(VALU_DEP_1) | instskip(SKIP_2) | instid1(VALU_DEP_2)
	v_add_f32_e32 v36, v38, v36
	v_fmamk_f32 v38, v110, 0xbf65296c, v157
	v_dual_mul_f32 v148, 0xbe3c28d5, v106 :: v_dual_fmac_f32 v153, 0xbe3c28d5, v108
	v_dual_add_f32 v37, v38, v36 :: v_dual_fmamk_f32 v36, v93, 0x3e3c28d5, v40
	v_mul_f32_e32 v38, 0x3f6eb680, v51
	v_fmac_f32_e32 v40, 0xbe3c28d5, v93
	s_delay_alu instid0(VALU_DEP_4) | instskip(NEXT) | instid1(VALU_DEP_4)
	v_add_f32_e32 v45, v153, v45
	v_add_f32_e32 v36, v36, v1
	s_delay_alu instid0(VALU_DEP_4) | instskip(SKIP_2) | instid1(VALU_DEP_3)
	v_fmamk_f32 v134, v91, 0xbeb8f4ab, v38
	v_fmac_f32_e32 v38, 0x3eb8f4ab, v91
	v_add_f32_e32 v40, v40, v1
	v_add_f32_e32 v36, v134, v36
	v_fmamk_f32 v134, v97, 0x3f06c442, v135
	s_delay_alu instid0(VALU_DEP_3) | instskip(NEXT) | instid1(VALU_DEP_2)
	v_add_f32_e32 v38, v38, v40
	v_add_f32_e32 v36, v134, v36
	v_fmamk_f32 v134, v101, 0xbf2c7751, v136
	v_fmac_f32_e32 v136, 0x3f2c7751, v101
	s_delay_alu instid0(VALU_DEP_2)
	v_dual_fmac_f32 v157, 0x3f65296c, v110 :: v_dual_add_f32 v134, v134, v36
	v_dual_add_f32 v36, v41, v39 :: v_dual_fmamk_f32 v39, v48, 0xbf7ba420, v138
	v_mul_f32_e32 v41, 0x3eb8f4ab, v105
	v_fmac_f32_e32 v135, 0xbf06c442, v97
	v_fma_f32 v138, 0xbf7ba420, v48, -v138
	v_mul_f32_e32 v147, 0xbf4c4adb, v111
	s_delay_alu instid0(VALU_DEP_4) | instskip(NEXT) | instid1(VALU_DEP_4)
	v_dual_add_f32 v39, v39, v0 :: v_dual_fmamk_f32 v142, v49, 0x3f6eb680, v41
	v_add_f32_e32 v38, v135, v38
	s_delay_alu instid0(VALU_DEP_4)
	v_add_f32_e32 v138, v138, v0
	v_fma_f32 v41, 0x3f6eb680, v49, -v41
	v_add_f32_e32 v45, v157, v45
	v_dual_add_f32 v39, v142, v39 :: v_dual_fmamk_f32 v142, v52, 0xbf59a7d5, v143
	v_add_f32_e32 v38, v136, v38
	v_mul_f32_e32 v136, 0x3f7ee86f, v113
	v_dual_mul_f32 v144, 0x3dbcf732, v63 :: v_dual_add_f32 v41, v41, v138
	s_delay_alu instid0(VALU_DEP_4) | instskip(SKIP_2) | instid1(VALU_DEP_2)
	v_add_f32_e32 v142, v142, v39
	v_dual_add_f32 v134, v139, v134 :: v_dual_fmamk_f32 v139, v106, 0xbf65296c, v140
	v_fmac_f32_e32 v140, 0x3f65296c, v106
	v_dual_add_f32 v134, v139, v134 :: v_dual_fmamk_f32 v139, v108, 0x3f763a35, v141
	v_fmac_f32_e32 v141, 0xbf763a35, v108
	v_fma_f32 v152, 0xbe8c1d8e, v49, -v152
	s_delay_alu instid0(VALU_DEP_3) | instskip(NEXT) | instid1(VALU_DEP_1)
	v_dual_add_f32 v134, v139, v134 :: v_dual_fmac_f32 v137, 0xbf4c4adb, v104
	v_dual_fmamk_f32 v139, v110, 0xbf7ee86f, v144 :: v_dual_add_f32 v38, v137, v38
	s_delay_alu instid0(VALU_DEP_1)
	v_add_f32_e32 v39, v139, v134
	v_dual_add_f32 v134, v146, v142 :: v_dual_fmamk_f32 v139, v56, 0xbf1a4643, v147
	v_mul_f32_e32 v142, 0x3f65296c, v114
	v_fma_f32 v137, 0xbf1a4643, v56, -v147
	v_add_f32_e32 v138, v140, v38
	v_mul_f32_e32 v146, 0xbeb8f4ab, v104
	v_add_f32_e32 v40, v139, v134
	v_fmamk_f32 v134, v58, 0x3ee437d1, v142
	v_mul_f32_e32 v139, 0xbf763a35, v112
	s_delay_alu instid0(VALU_DEP_2) | instskip(SKIP_2) | instid1(VALU_DEP_2)
	v_dual_fmamk_f32 v149, v57, 0x3f6eb680, v146 :: v_dual_add_f32 v40, v134, v40
	v_fma_f32 v134, 0xbf59a7d5, v52, -v143
	v_fma_f32 v143, 0x3dbcf732, v62, -v136
	v_add_f32_e32 v41, v134, v41
	v_fma_f32 v134, 0x3f3d2fb0, v54, -v145
	s_delay_alu instid0(VALU_DEP_1) | instskip(SKIP_3) | instid1(VALU_DEP_3)
	v_add_f32_e32 v41, v134, v41
	v_fmamk_f32 v135, v60, 0xbe8c1d8e, v139
	v_mul_f32_e32 v134, 0xbf06c442, v93
	v_fma_f32 v139, 0xbe8c1d8e, v60, -v139
	v_dual_add_f32 v40, v135, v40 :: v_dual_fmamk_f32 v135, v62, 0x3dbcf732, v136
	v_fmac_f32_e32 v144, 0x3f7ee86f, v110
	s_delay_alu instid0(VALU_DEP_2)
	v_add_f32_e32 v38, v135, v40
	v_add_f32_e32 v40, v137, v41
	v_fma_f32 v41, 0x3ee437d1, v58, -v142
	v_add_f32_e32 v137, v141, v138
	v_mul_f32_e32 v141, 0xbf7ee86f, v97
	v_fmamk_f32 v138, v50, 0xbf59a7d5, v134
	s_delay_alu instid0(VALU_DEP_4) | instskip(NEXT) | instid1(VALU_DEP_4)
	v_dual_mul_f32 v135, 0x3f65296c, v91 :: v_dual_add_f32 v40, v41, v40
	v_add_f32_e32 v41, v144, v137
	s_delay_alu instid0(VALU_DEP_3) | instskip(NEXT) | instid1(VALU_DEP_3)
	v_dual_mul_f32 v137, 0xbf06c442, v46 :: v_dual_add_f32 v138, v138, v1
	v_fmamk_f32 v140, v51, 0x3ee437d1, v135
	s_delay_alu instid0(VALU_DEP_4) | instskip(NEXT) | instid1(VALU_DEP_3)
	v_dual_add_f32 v40, v139, v40 :: v_dual_mul_f32 v139, 0x3f65296c, v105
	v_fma_f32 v136, 0xbf59a7d5, v48, -v137
	v_mul_f32_e32 v144, 0x3f4c4adb, v101
	s_delay_alu instid0(VALU_DEP_4)
	v_add_f32_e32 v138, v140, v138
	v_fmamk_f32 v140, v53, 0x3dbcf732, v141
	v_fma_f32 v145, 0x3ee437d1, v49, -v139
	v_add_f32_e32 v136, v136, v0
	v_mul_f32_e32 v142, 0xbf7ee86f, v107
	v_add_f32_e32 v40, v143, v40
	v_add_f32_e32 v138, v140, v138
	s_delay_alu instid0(VALU_DEP_4) | instskip(NEXT) | instid1(VALU_DEP_4)
	v_dual_fmamk_f32 v140, v55, 0xbf1a4643, v144 :: v_dual_add_f32 v145, v145, v136
	v_fma_f32 v147, 0x3dbcf732, v52, -v142
	v_mul_f32_e32 v136, 0x3f4c4adb, v109
	v_fma_f32 v160, 0x3ee437d1, v62, -v160
	s_delay_alu instid0(VALU_DEP_4) | instskip(NEXT) | instid1(VALU_DEP_4)
	v_add_f32_e32 v140, v140, v138
	v_dual_mul_f32 v138, 0xbeb8f4ab, v111 :: v_dual_add_f32 v145, v147, v145
	s_delay_alu instid0(VALU_DEP_4) | instskip(SKIP_1) | instid1(VALU_DEP_4)
	v_fma_f32 v147, 0xbf1a4643, v54, -v136
	v_dual_add_f32 v3, v3, v1 :: v_dual_fmac_f32 v142, 0x3dbcf732, v52
	v_add_f32_e32 v143, v149, v140
	v_fmamk_f32 v149, v59, 0xbf7ba420, v148
	s_delay_alu instid0(VALU_DEP_4) | instskip(SKIP_2) | instid1(VALU_DEP_4)
	v_add_f32_e32 v145, v147, v145
	v_fma_f32 v161, 0x3f6eb680, v56, -v138
	v_mul_f32_e32 v140, 0xbe3c28d5, v114
	v_dual_mul_f32 v147, 0x3f2c7751, v108 :: v_dual_add_f32 v162, v149, v143
	v_mul_f32_e32 v143, 0x3f2c7751, v112
	s_delay_alu instid0(VALU_DEP_4) | instskip(NEXT) | instid1(VALU_DEP_4)
	v_add_f32_e32 v145, v161, v145
	v_fma_f32 v149, 0xbf7ba420, v58, -v140
	s_delay_alu instid0(VALU_DEP_4)
	v_fmamk_f32 v161, v61, 0x3f3d2fb0, v147
	v_mul_f32_e32 v108, 0x3f6eb680, v50
	v_fma_f32 v163, 0x3f3d2fb0, v60, -v143
	v_add_f32_e32 v3, v25, v3
	v_add_f32_e32 v145, v149, v145
	v_mul_f32_e32 v149, 0xbf763a35, v110
	v_add_f32_e32 v161, v161, v162
	v_add_f32_e32 v69, v69, v108
	v_dual_add_f32 v3, v27, v3 :: v_dual_fmac_f32 v138, 0x3f6eb680, v56
	s_delay_alu instid0(VALU_DEP_4) | instskip(SKIP_2) | instid1(VALU_DEP_4)
	v_fmamk_f32 v43, v63, 0xbe8c1d8e, v149
	v_fmac_f32_e32 v140, 0xbf7ba420, v58
	v_fmac_f32_e32 v139, 0x3ee437d1, v49
	v_add_f32_e32 v3, v17, v3
	v_fmac_f32_e32 v143, 0x3f3d2fb0, v60
	v_add_f32_e32 v43, v43, v161
	v_mul_f32_e32 v161, 0xbf763a35, v93
	v_add_f32_e32 v162, v163, v145
	v_mul_f32_e32 v145, 0xbf763a35, v113
	v_mul_f32_e32 v163, 0x3f2c7751, v97
	v_add_f32_e32 v3, v19, v3
	v_fmamk_f32 v47, v50, 0xbe8c1d8e, v161
	s_delay_alu instid0(VALU_DEP_4) | instskip(NEXT) | instid1(VALU_DEP_4)
	v_fma_f32 v44, 0xbe8c1d8e, v62, -v145
	v_fmamk_f32 v151, v53, 0x3f3d2fb0, v163
	v_fmac_f32_e32 v145, 0xbe8c1d8e, v62
	s_delay_alu instid0(VALU_DEP_3)
	v_dual_add_f32 v47, v47, v1 :: v_dual_add_f32 v42, v44, v162
	v_add_f32_e32 v44, v152, v150
	v_fma_f32 v150, 0x3f6eb680, v52, -v154
	v_mul_f32_e32 v162, 0x3f06c442, v91
	v_dual_fmamk_f32 v154, v57, 0xbf7ba420, v165 :: v_dual_add_f32 v91, v122, v1
	v_fma_f32 v122, 0xbf1a4643, v49, -v130
	s_delay_alu instid0(VALU_DEP_4) | instskip(SKIP_4) | instid1(VALU_DEP_4)
	v_add_f32_e32 v44, v150, v44
	v_fma_f32 v150, 0xbf59a7d5, v54, -v155
	v_mul_f32_e32 v155, 0xbf65296c, v109
	v_fmamk_f32 v152, v51, 0xbf59a7d5, v162
	v_mul_f32_e32 v174, 0xbe3c28d5, v105
	v_dual_mul_f32 v109, 0x3eb8f4ab, v109 :: v_dual_add_f32 v44, v150, v44
	v_fma_f32 v150, 0x3dbcf732, v56, -v156
	s_delay_alu instid0(VALU_DEP_4) | instskip(NEXT) | instid1(VALU_DEP_4)
	v_dual_add_f32 v47, v152, v47 :: v_dual_mul_f32 v156, 0xbf65296c, v101
	v_fma_f32 v175, 0xbf7ba420, v49, -v174
	s_delay_alu instid0(VALU_DEP_3) | instskip(SKIP_1) | instid1(VALU_DEP_4)
	v_dual_add_f32 v91, v121, v91 :: v_dual_add_f32 v44, v150, v44
	v_fma_f32 v150, 0x3f3d2fb0, v58, -v158
	v_add_f32_e32 v47, v151, v47
	v_fmamk_f32 v152, v55, 0x3ee437d1, v156
	v_mul_f32_e32 v158, 0x3f06c442, v105
	s_delay_alu instid0(VALU_DEP_4) | instskip(SKIP_1) | instid1(VALU_DEP_4)
	v_dual_fmamk_f32 v105, v53, 0xbe8c1d8e, v171 :: v_dual_add_f32 v44, v150, v44
	v_fma_f32 v150, 0xbf7ba420, v60, -v159
	v_add_f32_e32 v47, v152, v47
	v_mul_f32_e32 v159, 0x3f7ee86f, v106
	v_fma_f32 v153, 0xbf59a7d5, v49, -v158
	s_delay_alu instid0(VALU_DEP_4) | instskip(NEXT) | instid1(VALU_DEP_3)
	v_dual_add_f32 v91, v120, v91 :: v_dual_add_f32 v44, v150, v44
	v_dual_add_f32 v47, v154, v47 :: v_dual_fmamk_f32 v154, v59, 0x3dbcf732, v159
	s_delay_alu instid0(VALU_DEP_2) | instskip(SKIP_1) | instid1(VALU_DEP_3)
	v_dual_add_f32 v91, v119, v91 :: v_dual_add_f32 v44, v160, v44
	v_fma_f32 v119, 0x3f3d2fb0, v56, -v123
	v_dual_add_f32 v47, v154, v47 :: v_dual_mul_f32 v164, 0xbf763a35, v46
	s_delay_alu instid0(VALU_DEP_3) | instskip(NEXT) | instid1(VALU_DEP_2)
	v_dual_mul_f32 v154, 0xbf4c4adb, v110 :: v_dual_add_f32 v91, v118, v91
	v_add_f32_e32 v47, v168, v47
	s_delay_alu instid0(VALU_DEP_3) | instskip(NEXT) | instid1(VALU_DEP_3)
	v_fma_f32 v151, 0xbe8c1d8e, v48, -v164
	v_dual_fmamk_f32 v168, v63, 0xbf1a4643, v154 :: v_dual_add_f32 v91, v117, v91
	v_dual_fmac_f32 v164, 0xbe8c1d8e, v48 :: v_dual_add_f32 v3, v29, v3
	s_delay_alu instid0(VALU_DEP_3) | instskip(NEXT) | instid1(VALU_DEP_3)
	v_add_f32_e32 v151, v151, v0
	v_dual_add_f32 v47, v168, v47 :: v_dual_mul_f32 v168, 0xbf7ee86f, v46
	s_delay_alu instid0(VALU_DEP_4) | instskip(NEXT) | instid1(VALU_DEP_3)
	v_dual_add_f32 v91, v116, v91 :: v_dual_mul_f32 v116, 0x3f3d2fb0, v48
	v_add_f32_e32 v151, v153, v151
	v_mul_f32_e32 v153, 0xbe3c28d5, v111
	v_mul_f32_e32 v111, 0xbf65296c, v111
	v_fma_f32 v173, 0x3dbcf732, v48, -v168
	v_dual_sub_f32 v77, v116, v77 :: v_dual_mul_f32 v116, 0xbf1a4643, v58
	s_delay_alu instid0(VALU_DEP_2) | instskip(NEXT) | instid1(VALU_DEP_2)
	v_dual_add_f32 v173, v173, v0 :: v_dual_mul_f32 v166, 0x3f2c7751, v107
	v_add_f32_e32 v77, v77, v0
	s_delay_alu instid0(VALU_DEP_2) | instskip(NEXT) | instid1(VALU_DEP_3)
	v_add_f32_e32 v107, v175, v173
	v_fma_f32 v152, 0x3f3d2fb0, v52, -v166
	v_fma_f32 v173, 0xbe8c1d8e, v52, -v176
	v_dual_fmac_f32 v166, 0x3f3d2fb0, v52 :: v_dual_add_f32 v3, v31, v3
	s_delay_alu instid0(VALU_DEP_3) | instskip(SKIP_1) | instid1(VALU_DEP_4)
	v_add_f32_e32 v151, v152, v151
	v_fma_f32 v152, 0x3ee437d1, v54, -v155
	v_add_f32_e32 v107, v173, v107
	v_fma_f32 v173, 0x3f6eb680, v54, -v109
	v_dual_add_f32 v69, v69, v1 :: v_dual_fmac_f32 v136, 0xbf1a4643, v54
	s_delay_alu instid0(VALU_DEP_4) | instskip(SKIP_1) | instid1(VALU_DEP_4)
	v_add_f32_e32 v150, v152, v151
	v_fma_f32 v151, 0xbf7ba420, v56, -v153
	v_dual_mul_f32 v152, 0x3f7ee86f, v114 :: v_dual_add_f32 v107, v173, v107
	v_fma_f32 v173, 0x3ee437d1, v56, -v111
	v_mul_f32_e32 v114, 0xbf06c442, v114
	s_delay_alu instid0(VALU_DEP_4) | instskip(NEXT) | instid1(VALU_DEP_4)
	v_dual_add_f32 v151, v151, v150 :: v_dual_mul_f32 v150, 0xbeb8f4ab, v112
	v_fma_f32 v157, 0x3dbcf732, v58, -v152
	s_delay_alu instid0(VALU_DEP_4) | instskip(NEXT) | instid1(VALU_DEP_4)
	v_add_f32_e32 v107, v173, v107
	v_fma_f32 v93, 0xbf59a7d5, v58, -v114
	v_fmamk_f32 v160, v50, 0x3dbcf732, v169
	s_delay_alu instid0(VALU_DEP_4) | instskip(SKIP_1) | instid1(VALU_DEP_3)
	v_dual_mul_f32 v112, 0x3f4c4adb, v112 :: v_dual_add_f32 v151, v157, v151
	v_fma_f32 v157, 0x3f6eb680, v60, -v150
	v_dual_add_f32 v93, v93, v107 :: v_dual_add_f32 v46, v160, v1
	v_fmamk_f32 v160, v51, 0xbf7ba420, v170
	s_delay_alu instid0(VALU_DEP_4) | instskip(NEXT) | instid1(VALU_DEP_4)
	v_fma_f32 v130, 0xbf1a4643, v60, -v112
	v_add_f32_e32 v157, v157, v151
	v_mul_f32_e32 v151, 0xbf4c4adb, v113
	s_delay_alu instid0(VALU_DEP_4) | instskip(SKIP_2) | instid1(VALU_DEP_4)
	v_dual_mul_f32 v113, 0x3f2c7751, v113 :: v_dual_add_f32 v46, v160, v46
	v_mul_f32_e32 v160, 0x3eb8f4ab, v101
	v_add_f32_e32 v93, v130, v93
	v_fma_f32 v172, 0xbf1a4643, v62, -v151
	s_delay_alu instid0(VALU_DEP_4) | instskip(NEXT) | instid1(VALU_DEP_4)
	v_fma_f32 v120, 0x3f3d2fb0, v62, -v113
	v_dual_add_f32 v46, v105, v46 :: v_dual_fmamk_f32 v105, v55, 0x3f6eb680, v160
	v_mul_f32_e32 v175, 0xbf06c442, v106
	v_mul_f32_e32 v101, 0x3f2c7751, v110
	v_dual_mul_f32 v110, 0x3dbcf732, v51 :: v_dual_add_f32 v107, v131, v0
	s_delay_alu instid0(VALU_DEP_4) | instskip(SKIP_2) | instid1(VALU_DEP_4)
	v_add_f32_e32 v46, v105, v46
	v_fmamk_f32 v105, v57, 0x3ee437d1, v177
	v_fmamk_f32 v178, v59, 0xbf59a7d5, v175
	v_add_f32_e32 v88, v88, v110
	v_fmamk_f32 v104, v63, 0x3f3d2fb0, v101
	v_fma_f32 v106, 0x3f6eb680, v58, -v125
	v_dual_add_f32 v105, v105, v46 :: v_dual_add_f32 v46, v172, v157
	v_fmamk_f32 v157, v61, 0xbf1a4643, v179
	v_mul_f32_e32 v110, 0x3f3d2fb0, v51
	v_dual_fmac_f32 v137, 0xbf59a7d5, v48 :: v_dual_fmac_f32 v158, 0xbf59a7d5, v49
	s_delay_alu instid0(VALU_DEP_4) | instskip(SKIP_1) | instid1(VALU_DEP_4)
	v_add_f32_e32 v105, v178, v105
	v_dual_add_f32 v3, v21, v3 :: v_dual_fmac_f32 v168, 0x3dbcf732, v48
	v_add_f32_e32 v67, v67, v110
	s_delay_alu instid0(VALU_DEP_3) | instskip(SKIP_4) | instid1(VALU_DEP_3)
	v_dual_fmac_f32 v152, 0x3dbcf732, v58 :: v_dual_add_f32 v97, v157, v105
	v_add_f32_e32 v105, v122, v107
	v_fma_f32 v107, 0xbf7ba420, v52, -v129
	v_dual_fmac_f32 v174, 0xbf7ba420, v49 :: v_dual_add_f32 v3, v23, v3
	v_dual_fmac_f32 v109, 0x3f6eb680, v54 :: v_dual_fmac_f32 v150, 0x3f6eb680, v60
	v_add_f32_e32 v105, v107, v105
	v_fma_f32 v107, 0xbe8c1d8e, v54, -v126
	s_delay_alu instid0(VALU_DEP_4)
	v_add_f32_e32 v13, v13, v3
	v_fmac_f32_e32 v111, 0x3ee437d1, v56
	v_fmac_f32_e32 v151, 0xbf1a4643, v62
	;; [unrolled: 1-line block ×3, first 2 shown]
	v_add_f32_e32 v107, v107, v105
	v_add_f32_e32 v105, v104, v97
	;; [unrolled: 1-line block ×4, first 2 shown]
	v_fma_f32 v15, 0xbf59a7d5, v50, -v134
	v_add_f32_e32 v97, v119, v107
	v_mul_f32_e32 v107, 0x3f3d2fb0, v50
	v_fmac_f32_e32 v153, 0xbf7ba420, v56
	v_add_f32_e32 v9, v9, v13
	v_add_f32_e32 v13, v15, v1
	;; [unrolled: 1-line block ×4, first 2 shown]
	v_fma_f32 v106, 0x3dbcf732, v60, -v133
	v_fma_f32 v15, 0x3ee437d1, v51, -v135
	v_add_f32_e32 v9, v11, v9
	v_add_f32_e32 v11, v14, v12
	;; [unrolled: 1-line block ×4, first 2 shown]
	v_fma_f32 v106, 0xbf59a7d5, v62, -v132
	v_add_f32_e32 v12, v15, v13
	v_fma_f32 v13, 0x3dbcf732, v53, -v141
	v_dual_add_f32 v81, v88, v81 :: v_dual_mul_f32 v88, 0x3ee437d1, v52
	v_add_f32_e32 v107, v115, v91
	v_mul_f32_e32 v91, 0x3dbcf732, v49
	v_add_f32_e32 v106, v106, v97
	v_mul_f32_e32 v97, 0xbf1a4643, v53
	v_mul_f32_e32 v115, 0x3ee437d1, v53
	s_delay_alu instid0(VALU_DEP_4) | instskip(SKIP_3) | instid1(VALU_DEP_4)
	v_dual_sub_f32 v19, v88, v66 :: v_dual_sub_f32 v80, v91, v80
	v_mul_f32_e32 v91, 0xbf1a4643, v52
	v_dual_add_f32 v5, v5, v9 :: v_dual_add_f32 v8, v8, v11
	v_add_f32_e32 v9, v137, v0
	v_add_f32_e32 v77, v80, v77
	s_delay_alu instid0(VALU_DEP_4) | instskip(SKIP_3) | instid1(VALU_DEP_4)
	v_sub_f32_e32 v87, v91, v87
	v_mul_f32_e32 v91, 0xbf7ba420, v54
	v_mul_f32_e32 v93, 0x3f6eb680, v48
	v_dual_mul_f32 v80, 0xbf59a7d5, v57 :: v_dual_add_f32 v11, v13, v12
	v_add_f32_e32 v77, v87, v77
	s_delay_alu instid0(VALU_DEP_4) | instskip(NEXT) | instid1(VALU_DEP_4)
	v_dual_sub_f32 v90, v91, v90 :: v_dual_mul_f32 v91, 0xbf59a7d5, v56
	v_dual_sub_f32 v25, v93, v64 :: v_dual_add_f32 v64, v67, v69
	s_delay_alu instid0(VALU_DEP_4) | instskip(NEXT) | instid1(VALU_DEP_3)
	v_add_f32_e32 v80, v98, v80
	v_add_f32_e32 v77, v90, v77
	s_delay_alu instid0(VALU_DEP_4) | instskip(SKIP_3) | instid1(VALU_DEP_4)
	v_sub_f32_e32 v91, v91, v94
	v_mul_f32_e32 v94, 0xbe8c1d8e, v58
	v_dual_mul_f32 v98, 0xbe8c1d8e, v57 :: v_dual_mul_f32 v87, 0xbe8c1d8e, v59
	v_add_f32_e32 v25, v25, v0
	v_add_f32_e32 v77, v91, v77
	s_delay_alu instid0(VALU_DEP_4) | instskip(SKIP_2) | instid1(VALU_DEP_3)
	v_dual_sub_f32 v91, v94, v95 :: v_dual_mul_f32 v94, 0x3ee437d1, v60
	v_add_f32_e32 v89, v89, v97
	v_dual_add_f32 v27, v68, v115 :: v_dual_mul_f32 v90, 0x3ee437d1, v61
	v_dual_add_f32 v77, v91, v77 :: v_dual_sub_f32 v94, v94, v99
	v_mul_f32_e32 v99, 0x3f6eb680, v62
	v_mul_f32_e32 v97, 0xbf7ba420, v55
	v_add_f32_e32 v81, v89, v81
	v_mul_f32_e32 v89, 0x3dbcf732, v54
	s_delay_alu instid0(VALU_DEP_4) | instskip(NEXT) | instid1(VALU_DEP_4)
	v_dual_add_f32 v77, v94, v77 :: v_dual_sub_f32 v94, v99, v96
	v_dual_add_f32 v92, v92, v97 :: v_dual_mul_f32 v97, 0x3dbcf732, v55
	v_add_f32_e32 v17, v27, v64
	v_fma_f32 v12, 0xbf1a4643, v55, -v144
	v_dual_add_f32 v5, v7, v5 :: v_dual_fmac_f32 v112, 0xbf1a4643, v60
	s_delay_alu instid0(VALU_DEP_4) | instskip(SKIP_4) | instid1(VALU_DEP_4)
	v_add_f32_e32 v81, v92, v81
	v_add_f32_e32 v24, v71, v97
	v_mul_f32_e32 v92, 0xbe8c1d8e, v56
	v_fmac_f32_e32 v113, 0x3f3d2fb0, v62
	v_dual_add_f32 v7, v10, v8 :: v_dual_add_f32 v8, v139, v9
	v_dual_add_f32 v17, v24, v17 :: v_dual_add_f32 v24, v73, v98
	v_add_f32_e32 v80, v80, v81
	v_add_f32_e32 v81, v100, v87
	v_mul_f32_e32 v117, 0x3f3d2fb0, v49
	v_mul_f32_e32 v87, 0xbf1a4643, v59
	v_add_f32_e32 v9, v12, v11
	v_fma_f32 v10, 0x3f6eb680, v57, -v146
	v_add_f32_e32 v80, v81, v80
	v_dual_sub_f32 v65, v117, v65 :: v_dual_add_f32 v4, v4, v7
	v_add_f32_e32 v7, v142, v8
	s_delay_alu instid0(VALU_DEP_4) | instskip(SKIP_1) | instid1(VALU_DEP_4)
	v_add_f32_e32 v8, v10, v9
	v_fma_f32 v9, 0xbf7ba420, v59, -v148
	v_dual_add_f32 v25, v65, v25 :: v_dual_add_f32 v4, v6, v4
	v_fma_f32 v6, 0xbe8c1d8e, v50, -v161
	s_delay_alu instid0(VALU_DEP_3) | instskip(NEXT) | instid1(VALU_DEP_3)
	v_dual_add_f32 v7, v136, v7 :: v_dual_add_f32 v8, v9, v8
	v_dual_add_f32 v16, v19, v25 :: v_dual_sub_f32 v19, v89, v70
	v_fma_f32 v9, 0x3f3d2fb0, v61, -v147
	s_delay_alu instid0(VALU_DEP_4) | instskip(SKIP_1) | instid1(VALU_DEP_4)
	v_add_f32_e32 v6, v6, v1
	v_fma_f32 v10, 0xbf59a7d5, v51, -v162
	v_dual_add_f32 v7, v138, v7 :: v_dual_add_f32 v16, v19, v16
	v_sub_f32_e32 v19, v92, v72
	v_dual_add_f32 v81, v102, v90 :: v_dual_add_f32 v8, v9, v8
	s_delay_alu instid0(VALU_DEP_4) | instskip(SKIP_1) | instid1(VALU_DEP_4)
	v_add_f32_e32 v6, v10, v6
	v_fma_f32 v9, 0x3f3d2fb0, v53, -v163
	v_add_f32_e32 v16, v19, v16
	s_delay_alu instid0(VALU_DEP_4) | instskip(NEXT) | instid1(VALU_DEP_3)
	v_dual_add_f32 v80, v81, v80 :: v_dual_mul_f32 v81, 0x3f6eb680, v63
	v_dual_add_f32 v7, v140, v7 :: v_dual_add_f32 v6, v9, v6
	v_fma_f32 v9, 0x3ee437d1, v55, -v156
	v_fma_f32 v10, 0xbe8c1d8e, v63, -v149
	s_delay_alu instid0(VALU_DEP_4) | instskip(NEXT) | instid1(VALU_DEP_4)
	v_add_f32_e32 v81, v103, v81
	v_dual_add_f32 v11, v143, v7 :: v_dual_add_f32 v12, v164, v0
	s_delay_alu instid0(VALU_DEP_4) | instskip(SKIP_1) | instid1(VALU_DEP_4)
	v_add_f32_e32 v9, v9, v6
	v_fma_f32 v13, 0xbf7ba420, v57, -v165
	v_add_f32_e32 v81, v81, v80
	v_add_f32_e32 v7, v10, v8
	v_dual_add_f32 v8, v158, v12 :: v_dual_add_f32 v17, v24, v17
	v_add_f32_e32 v6, v145, v11
	v_add_f32_e32 v9, v13, v9
	v_fma_f32 v10, 0x3dbcf732, v59, -v159
	v_fma_f32 v11, 0x3dbcf732, v50, -v169
	v_mul_f32_e32 v90, 0xbf59a7d5, v61
	v_add_f32_e32 v18, v75, v87
	v_add_f32_e32 v8, v166, v8
	;; [unrolled: 1-line block ×4, first 2 shown]
	v_fma_f32 v10, 0xbf7ba420, v51, -v170
	s_delay_alu instid0(VALU_DEP_4) | instskip(SKIP_1) | instid1(VALU_DEP_3)
	v_dual_add_f32 v17, v18, v17 :: v_dual_add_f32 v8, v155, v8
	v_add_f32_e32 v18, v78, v90
	v_dual_add_f32 v0, v168, v0 :: v_dual_add_f32 v1, v10, v1
	v_fma_f32 v10, 0xbe8c1d8e, v53, -v171
	v_sub_f32_e32 v19, v116, v74
	s_delay_alu instid0(VALU_DEP_4) | instskip(NEXT) | instid1(VALU_DEP_4)
	v_dual_add_f32 v17, v18, v17 :: v_dual_fmac_f32 v176, 0xbe8c1d8e, v52
	v_add_f32_e32 v0, v174, v0
	s_delay_alu instid0(VALU_DEP_4) | instskip(SKIP_2) | instid1(VALU_DEP_4)
	v_add_f32_e32 v1, v10, v1
	v_fma_f32 v10, 0x3f6eb680, v55, -v160
	v_dual_mul_f32 v91, 0xbf7ba420, v63 :: v_dual_add_f32 v16, v19, v16
	v_add_f32_e32 v0, v176, v0
	s_delay_alu instid0(VALU_DEP_3) | instskip(SKIP_1) | instid1(VALU_DEP_4)
	v_dual_mul_f32 v100, 0xbf59a7d5, v60 :: v_dual_add_f32 v1, v10, v1
	v_fma_f32 v10, 0x3ee437d1, v57, -v177
	v_dual_mul_f32 v95, 0xbf7ba420, v62 :: v_dual_add_f32 v18, v86, v91
	s_delay_alu instid0(VALU_DEP_4) | instskip(NEXT) | instid1(VALU_DEP_4)
	v_add_f32_e32 v0, v109, v0
	v_dual_sub_f32 v19, v100, v76 :: v_dual_fmac_f32 v114, 0xbf59a7d5, v58
	s_delay_alu instid0(VALU_DEP_4) | instskip(SKIP_3) | instid1(VALU_DEP_3)
	v_add_f32_e32 v1, v10, v1
	v_fma_f32 v10, 0xbf59a7d5, v59, -v175
	v_dual_add_f32 v3, v18, v17 :: v_dual_add_f32 v8, v153, v8
	v_add_f32_e32 v0, v111, v0
	v_dual_add_f32 v16, v19, v16 :: v_dual_add_f32 v1, v10, v1
	v_mul_lo_u16 v10, v128, 17
	s_delay_alu instid0(VALU_DEP_4)
	v_dual_sub_f32 v17, v95, v79 :: v_dual_add_f32 v8, v152, v8
	v_fma_f32 v11, 0x3f6eb680, v61, -v167
	v_fma_f32 v12, 0xbf1a4643, v61, -v179
	v_add_f32_e32 v0, v114, v0
	v_and_b32_e32 v10, 0xffff, v10
	v_add_f32_e32 v2, v17, v16
	v_dual_add_f32 v5, v33, v5 :: v_dual_add_f32 v4, v32, v4
	s_delay_alu instid0(VALU_DEP_4)
	v_dual_add_f32 v14, v112, v0 :: v_dual_add_f32 v9, v11, v9
	v_fma_f32 v11, 0xbf1a4643, v63, -v154
	v_add_f32_e32 v8, v150, v8
	v_add_f32_e32 v12, v12, v1
	v_fma_f32 v13, 0x3f3d2fb0, v63, -v101
	v_lshlrev_b32_e32 v10, 3, v10
	v_add_f32_e32 v80, v94, v77
	v_add_f32_e32 v1, v11, v9
	;; [unrolled: 1-line block ×5, first 2 shown]
	ds_store_2addr_b64 v10, v[4:5], v[2:3] offset1:1
	ds_store_2addr_b64 v10, v[80:81], v[106:107] offset0:2 offset1:3
	ds_store_2addr_b64 v10, v[104:105], v[46:47] offset0:4 offset1:5
	;; [unrolled: 1-line block ×7, first 2 shown]
	ds_store_b64 v10, v[84:85] offset:128
.LBB0_7:
	s_wait_alu 0xfffe
	s_or_b32 exec_lo, exec_lo, s0
	v_and_b32_e32 v13, 0xff, v128
	v_add_nc_u16 v23, v128, 0x77
	v_add_co_u32 v2, null, 0x1dc, v128
	v_add_co_u32 v12, null, 0xee, v128
	s_delay_alu instid0(VALU_DEP_4) | instskip(NEXT) | instid1(VALU_DEP_4)
	v_mul_lo_u16 v0, 0xf1, v13
	v_and_b32_e32 v17, 0xff, v23
	s_load_b128 s[4:7], s[4:5], 0x0
	global_wb scope:SCOPE_SE
	s_wait_dscnt 0x0
	s_wait_kmcnt 0x0
	s_barrier_signal -1
	v_lshrrev_b16 v52, 12, v0
	v_mul_lo_u16 v0, 0xf1, v17
	s_barrier_wait -1
	global_inv scope:SCOPE_SE
	v_add_co_u32 v1, null, 0x165, v128
	v_mul_lo_u16 v3, v52, 17
	v_lshrrev_b16 v53, 12, v0
	v_and_b32_e32 v0, 0xffff, v2
	v_mul_lo_u16 v19, 0xa1, v13
	v_mul_lo_u16 v63, 0xa1, v17
	v_sub_nc_u16 v3, v128, v3
	s_delay_alu instid0(VALU_DEP_4) | instskip(NEXT) | instid1(VALU_DEP_4)
	v_mul_u32_u24_e32 v0, 0xf0f1, v0
	v_lshrrev_b16 v62, 13, v19
	s_delay_alu instid0(VALU_DEP_4) | instskip(NEXT) | instid1(VALU_DEP_4)
	v_lshrrev_b16 v63, 13, v63
	v_and_b32_e32 v55, 0xff, v3
	s_delay_alu instid0(VALU_DEP_4) | instskip(NEXT) | instid1(VALU_DEP_4)
	v_lshrrev_b32_e32 v57, 20, v0
	v_mul_lo_u16 v65, v62, 51
	s_delay_alu instid0(VALU_DEP_4) | instskip(NEXT) | instid1(VALU_DEP_4)
	v_mul_lo_u16 v66, v63, 51
	v_lshlrev_b32_e32 v0, 4, v55
	s_delay_alu instid0(VALU_DEP_3) | instskip(SKIP_3) | instid1(VALU_DEP_2)
	v_sub_nc_u16 v65, v128, v65
	global_load_b128 v[28:31], v0, s[2:3]
	v_and_b32_e32 v18, 0xffff, v12
	v_and_b32_e32 v4, 0xffff, v1
	v_mul_u32_u24_e32 v5, 0xf0f1, v18
	s_delay_alu instid0(VALU_DEP_2) | instskip(SKIP_1) | instid1(VALU_DEP_3)
	v_mul_u32_u24_e32 v4, 0xf0f1, v4
	v_mul_u32_u24_e32 v64, 0xa0a1, v18
	v_lshrrev_b32_e32 v54, 20, v5
	v_mul_lo_u16 v5, v53, 17
	s_delay_alu instid0(VALU_DEP_4) | instskip(NEXT) | instid1(VALU_DEP_4)
	v_lshrrev_b32_e32 v56, 20, v4
	v_lshrrev_b32_e32 v64, 21, v64
	s_delay_alu instid0(VALU_DEP_4) | instskip(NEXT) | instid1(VALU_DEP_4)
	v_mul_lo_u16 v3, v54, 17
	v_sub_nc_u16 v4, v23, v5
	s_delay_alu instid0(VALU_DEP_4) | instskip(NEXT) | instid1(VALU_DEP_4)
	v_mul_lo_u16 v5, v56, 17
	v_mul_lo_u16 v67, v64, 51
	v_sub_nc_u16 v23, v23, v66
	v_sub_nc_u16 v58, v12, v3
	v_and_b32_e32 v59, 0xff, v4
	v_sub_nc_u16 v60, v1, v5
	v_mul_lo_u16 v3, v57, 17
	s_delay_alu instid0(VALU_DEP_3) | instskip(NEXT) | instid1(VALU_DEP_2)
	v_lshlrev_b32_e32 v1, 4, v59
	v_sub_nc_u16 v61, v2, v3
	s_delay_alu instid0(VALU_DEP_4) | instskip(SKIP_3) | instid1(VALU_DEP_2)
	v_lshlrev_b16 v2, 1, v60
	global_load_b128 v[24:27], v1, s[2:3]
	v_lshlrev_b16 v0, 1, v58
	v_lshlrev_b16 v1, 1, v61
	v_and_b32_e32 v0, 0xffff, v0
	s_delay_alu instid0(VALU_DEP_2) | instskip(NEXT) | instid1(VALU_DEP_2)
	v_and_b32_e32 v1, 0xffff, v1
	v_lshlrev_b32_e32 v0, 3, v0
	global_load_b128 v[8:11], v0, s[2:3]
	v_and_b32_e32 v2, 0xffff, v2
	v_lshlrev_b32_e32 v0, 3, v1
	s_delay_alu instid0(VALU_DEP_2) | instskip(SKIP_4) | instid1(VALU_DEP_1)
	v_lshlrev_b32_e32 v2, 3, v2
	s_clause 0x1
	global_load_b128 v[4:7], v2, s[2:3]
	global_load_b128 v[0:3], v0, s[2:3]
	v_and_b32_e32 v14, 0xffff, v128
	v_lshlrev_b32_e32 v129, 3, v14
	ds_load_2addr_b64 v[13:16], v129 offset1:119
	v_add_nc_u32_e32 v142, 0xc00, v129
	ds_load_b64 v[21:22], v129 offset:13328
	v_add_nc_u32_e32 v138, 0x2400, v129
	v_add_nc_u32_e32 v140, 0x1400, v129
	;; [unrolled: 1-line block ×5, first 2 shown]
	ds_load_2addr_b64 v[17:20], v142 offset0:92 offset1:211
	ds_load_2addr_b64 v[32:35], v138 offset0:38 offset1:157
	;; [unrolled: 1-line block ×6, first 2 shown]
	v_and_b32_e32 v52, 0xffff, v52
	v_and_b32_e32 v53, 0xffff, v53
	;; [unrolled: 1-line block ×3, first 2 shown]
	global_wb scope:SCOPE_SE
	s_wait_loadcnt_dscnt 0x0
	s_barrier_signal -1
	v_mul_u32_u24_e32 v52, 51, v52
	s_barrier_wait -1
	global_inv scope:SCOPE_SE
	v_add_lshl_u32 v136, v52, v55, 3
	v_mad_u16 v52, v54, 51, v58
	v_mad_u16 v54, v56, 51, v60
	;; [unrolled: 1-line block ×3, first 2 shown]
	s_delay_alu instid0(VALU_DEP_3) | instskip(NEXT) | instid1(VALU_DEP_3)
	v_and_b32_e32 v52, 0xffff, v52
	v_and_b32_e32 v54, 0xffff, v54
	s_delay_alu instid0(VALU_DEP_3) | instskip(NEXT) | instid1(VALU_DEP_3)
	v_and_b32_e32 v55, 0xffff, v55
	v_lshlrev_b32_e32 v135, 3, v52
	s_delay_alu instid0(VALU_DEP_3) | instskip(SKIP_3) | instid1(VALU_DEP_1)
	v_lshlrev_b32_e32 v134, 3, v54
	v_mul_f32_e32 v52, v20, v29
	v_mul_f32_e32 v54, v33, v31
	;; [unrolled: 1-line block ×3, first 2 shown]
	v_fmac_f32_e32 v58, v35, v26
	v_mul_f32_e32 v60, v47, v7
	v_mul_f32_e32 v70, v21, v3
	v_mul_u32_u24_e32 v53, 51, v53
	v_dual_mul_f32 v61, v46, v7 :: v_dual_mul_f32 v66, v51, v1
	v_mul_f32_e32 v69, v22, v3
	s_delay_alu instid0(VALU_DEP_3)
	v_add_lshl_u32 v137, v53, v59, 3
	v_mul_f32_e32 v53, v19, v29
	v_fma_f32 v19, v19, v28, -v52
	v_mul_f32_e32 v52, v36, v25
	v_mul_f32_e32 v59, v48, v5
	v_fmac_f32_e32 v61, v47, v6
	v_fmac_f32_e32 v53, v20, v28
	v_fma_f32 v20, v32, v30, -v54
	v_lshlrev_b32_e32 v133, 3, v55
	v_dual_mul_f32 v55, v32, v31 :: v_dual_mul_f32 v32, v37, v25
	v_mul_f32_e32 v54, v35, v27
	s_delay_alu instid0(VALU_DEP_4) | instskip(SKIP_1) | instid1(VALU_DEP_4)
	v_add_f32_e32 v72, v19, v20
	v_dual_sub_f32 v75, v19, v20 :: v_dual_and_b32 v68, 0xff, v65
	v_fmac_f32_e32 v55, v33, v30
	v_sub_nc_u16 v65, v12, v67
	v_fma_f32 v32, v36, v24, -v32
	v_fmac_f32_e32 v52, v37, v24
	v_fma_f32 v33, v34, v26, -v54
	v_mul_f32_e32 v34, v39, v9
	v_dual_mul_f32 v35, v38, v9 :: v_dual_mul_f32 v36, v45, v11
	v_dual_mul_f32 v37, v44, v11 :: v_dual_mul_f32 v54, v49, v5
	v_mul_f32_e32 v67, v50, v1
	v_dual_sub_f32 v73, v53, v55 :: v_dual_add_f32 v74, v14, v53
	v_add_f32_e32 v53, v53, v55
	v_add_f32_e32 v71, v13, v19
	s_delay_alu instid0(VALU_DEP_4)
	v_fmac_f32_e32 v67, v51, v0
	v_lshlrev_b32_e32 v56, 5, v68
	v_fma_f32 v34, v38, v8, -v34
	v_fmac_f32_e32 v35, v39, v8
	v_fma_f32 v36, v44, v10, -v36
	v_fmac_f32_e32 v37, v45, v10
	v_fma_f32 v38, v48, v4, -v54
	v_fma_f32 v44, v46, v6, -v60
	;; [unrolled: 1-line block ×4, first 2 shown]
	v_fma_f32 v13, -0.5, v72, v13
	v_fma_f32 v14, -0.5, v53, v14
	v_add_f32_e32 v47, v32, v33
	v_dual_add_f32 v50, v52, v58 :: v_dual_fmac_f32 v59, v49, v4
	v_dual_fmac_f32 v70, v22, v2 :: v_dual_add_f32 v19, v71, v20
	v_dual_add_f32 v20, v74, v55 :: v_dual_add_f32 v49, v16, v52
	v_dual_add_f32 v46, v15, v32 :: v_dual_sub_f32 v51, v32, v33
	v_dual_sub_f32 v48, v52, v58 :: v_dual_fmamk_f32 v21, v73, 0x3f5db3d7, v13
	v_dual_fmac_f32 v13, 0xbf5db3d7, v73 :: v_dual_fmamk_f32 v22, v75, 0xbf5db3d7, v14
	v_fmac_f32_e32 v14, 0x3f5db3d7, v75
	v_fma_f32 v15, -0.5, v47, v15
	v_dual_add_f32 v47, v34, v36 :: v_dual_fmac_f32 v16, -0.5, v50
	v_dual_add_f32 v50, v41, v35 :: v_dual_add_f32 v55, v38, v44
	v_dual_add_f32 v52, v35, v37 :: v_dual_add_f32 v73, v18, v67
	v_dual_sub_f32 v66, v38, v44 :: v_dual_add_f32 v71, v39, v45
	v_dual_add_f32 v32, v46, v33 :: v_dual_add_f32 v69, v17, v39
	v_add_f32_e32 v33, v49, v58
	v_add_f32_e32 v54, v42, v38
	v_sub_f32_e32 v58, v59, v61
	v_add_f32_e32 v60, v43, v59
	v_dual_add_f32 v59, v59, v61 :: v_dual_add_f32 v46, v40, v34
	v_sub_f32_e32 v53, v34, v36
	v_sub_f32_e32 v49, v35, v37
	s_delay_alu instid0(VALU_DEP_3)
	v_dual_sub_f32 v74, v39, v45 :: v_dual_fmac_f32 v43, -0.5, v59
	v_fma_f32 v38, -0.5, v47, v40
	v_dual_add_f32 v37, v50, v37 :: v_dual_sub_f32 v72, v67, v70
	v_dual_add_f32 v67, v67, v70 :: v_dual_fmamk_f32 v34, v48, 0x3f5db3d7, v15
	v_fma_f32 v39, -0.5, v52, v41
	v_fma_f32 v17, -0.5, v71, v17
	v_mad_u16 v64, 0xff, v64, v65
	v_fma_f32 v42, -0.5, v55, v42
	v_dual_fmamk_f32 v35, v51, 0xbf5db3d7, v16 :: v_dual_add_f32 v36, v46, v36
	v_dual_add_f32 v40, v54, v44 :: v_dual_add_f32 v41, v60, v61
	v_fmac_f32_e32 v18, -0.5, v67
	ds_store_2addr_b64 v136, v[19:20], v[21:22] offset1:17
	ds_store_b64 v136, v[13:14] offset:272
	v_fmamk_f32 v13, v49, 0x3f5db3d7, v38
	v_fmac_f32_e32 v38, 0xbf5db3d7, v49
	v_fmamk_f32 v14, v53, 0xbf5db3d7, v39
	v_fmac_f32_e32 v39, 0x3f5db3d7, v53
	v_fmamk_f32 v21, v72, 0x3f5db3d7, v17
	v_fmac_f32_e32 v17, 0xbf5db3d7, v72
	v_and_b32_e32 v72, 0xffff, v64
	v_fmac_f32_e32 v15, 0xbf5db3d7, v48
	v_fmac_f32_e32 v16, 0x3f5db3d7, v51
	v_dual_add_f32 v44, v69, v45 :: v_dual_fmamk_f32 v19, v58, 0x3f5db3d7, v42
	v_dual_fmamk_f32 v20, v66, 0xbf5db3d7, v43 :: v_dual_add_f32 v45, v73, v70
	v_fmac_f32_e32 v42, 0xbf5db3d7, v58
	v_dual_fmac_f32 v43, 0x3f5db3d7, v66 :: v_dual_lshlrev_b32 v130, 3, v72
	v_fmamk_f32 v22, v74, 0xbf5db3d7, v18
	v_fmac_f32_e32 v18, 0x3f5db3d7, v74
	ds_store_2addr_b64 v137, v[32:33], v[34:35] offset1:17
	ds_store_b64 v137, v[15:16] offset:272
	ds_store_2addr_b64 v135, v[36:37], v[13:14] offset1:17
	ds_store_b64 v135, v[38:39] offset:272
	;; [unrolled: 2-line block ×4, first 2 shown]
	v_lshlrev_b32_e32 v15, 5, v23
	global_wb scope:SCOPE_SE
	s_wait_dscnt 0x0
	s_barrier_signal -1
	s_barrier_wait -1
	global_inv scope:SCOPE_SE
	s_clause 0x1
	global_load_b128 v[52:55], v56, s[2:3] offset:272
	global_load_b128 v[44:47], v15, s[2:3] offset:272
	v_lshlrev_b16 v57, 5, v65
	global_load_b128 v[48:51], v56, s[2:3] offset:288
	v_and_b32_e32 v13, 0xffff, v57
	s_delay_alu instid0(VALU_DEP_1)
	v_add_co_u32 v13, s0, s2, v13
	s_wait_alu 0xf1ff
	v_add_co_ci_u32_e64 v14, null, s3, 0, s0
	s_clause 0x2
	global_load_b128 v[36:39], v15, s[2:3] offset:288
	global_load_b128 v[40:43], v[13:14], off offset:272
	global_load_b128 v[32:35], v[13:14], off offset:288
	ds_load_2addr_b64 v[13:16], v125 offset0:110 offset1:229
	ds_load_2addr_b64 v[64:67], v142 offset0:92 offset1:211
	v_and_b32_e32 v21, 0xffff, v62
	v_and_b32_e32 v22, 0xffff, v63
	ds_load_2addr_b64 v[60:63], v139 offset0:20 offset1:139
	ds_load_2addr_b64 v[17:20], v140 offset0:74 offset1:193
	;; [unrolled: 1-line block ×3, first 2 shown]
	v_cmp_gt_u16_e64 s0, 17, v128
	s_wait_loadcnt_dscnt 0x504
	v_mul_f32_e32 v76, v15, v53
	s_wait_loadcnt_dscnt 0x403
	v_mul_f32_e32 v81, v65, v45
	v_mul_u32_u24_e32 v21, 0xff, v21
	v_mul_u32_u24_e32 v22, 0xff, v22
	s_wait_loadcnt_dscnt 0x302
	v_mul_f32_e32 v87, v60, v51
	s_wait_dscnt 0x1
	v_mul_f32_e32 v77, v18, v55
	v_mul_f32_e32 v78, v17, v55
	v_add_lshl_u32 v132, v21, v68, 3
	v_add_lshl_u32 v131, v22, v23, 3
	ds_load_2addr_b64 v[68:71], v138 offset0:38 offset1:157
	ds_load_2addr_b64 v[72:75], v129 offset1:119
	ds_load_b64 v[21:22], v129 offset:13328
	v_mul_f32_e32 v23, v16, v53
	s_wait_dscnt 0x3
	v_mul_f32_e32 v79, v59, v49
	v_dual_mul_f32 v86, v58, v49 :: v_dual_mul_f32 v89, v20, v47
	v_mul_f32_e32 v80, v61, v51
	s_wait_loadcnt 0x1
	v_dual_fmac_f32 v76, v16, v52 :: v_dual_mul_f32 v95, v67, v41
	v_dual_mul_f32 v96, v66, v41 :: v_dual_fmac_f32 v87, v61, v50
	v_dual_mul_f32 v88, v64, v45 :: v_dual_mul_f32 v93, v63, v39
	v_mul_f32_e32 v90, v19, v47
	v_mul_f32_e32 v94, v62, v39
	;; [unrolled: 1-line block ×3, first 2 shown]
	v_fma_f32 v15, v15, v52, -v23
	v_fma_f32 v16, v17, v54, -v77
	v_fmac_f32_e32 v78, v18, v54
	v_fma_f32 v23, v58, v48, -v79
	s_wait_dscnt 0x2
	v_mul_f32_e32 v91, v69, v37
	s_wait_loadcnt_dscnt 0x0
	v_dual_mul_f32 v101, v22, v35 :: v_dual_mul_f32 v92, v68, v37
	v_mul_f32_e32 v99, v71, v33
	v_mul_f32_e32 v100, v70, v33
	v_fma_f32 v77, v60, v50, -v80
	v_mul_f32_e32 v102, v21, v35
	v_fmac_f32_e32 v86, v59, v48
	v_dual_fmac_f32 v96, v67, v40 :: v_dual_sub_f32 v67, v76, v87
	v_mul_f32_e32 v98, v56, v43
	v_fma_f32 v17, v64, v44, -v81
	v_dual_fmac_f32 v88, v65, v44 :: v_dual_sub_f32 v61, v23, v77
	v_fma_f32 v19, v19, v46, -v89
	v_fmac_f32_e32 v90, v20, v46
	v_fma_f32 v58, v68, v36, -v91
	v_fmac_f32_e32 v92, v69, v36
	v_fma_f32 v68, v62, v38, -v93
	v_dual_fmac_f32 v94, v63, v38 :: v_dual_sub_f32 v79, v16, v23
	v_fma_f32 v18, v66, v40, -v95
	v_fma_f32 v56, v56, v42, -v97
	;; [unrolled: 1-line block ×4, first 2 shown]
	v_dual_add_f32 v20, v72, v15 :: v_dual_add_f32 v91, v19, v58
	v_dual_add_f32 v21, v16, v23 :: v_dual_fmac_f32 v100, v71, v32
	v_add_f32_e32 v89, v74, v17
	v_sub_f32_e32 v69, v78, v86
	v_fmac_f32_e32 v98, v57, v42
	v_sub_f32_e32 v57, v77, v23
	v_sub_f32_e32 v81, v86, v87
	v_dual_add_f32 v59, v15, v77 :: v_dual_fmac_f32 v102, v22, v34
	v_dual_sub_f32 v97, v17, v19 :: v_dual_sub_f32 v22, v15, v16
	v_sub_f32_e32 v93, v88, v94
	v_dual_add_f32 v63, v73, v76 :: v_dual_add_f32 v64, v78, v86
	v_dual_add_f32 v101, v17, v68 :: v_dual_add_f32 v80, v76, v87
	v_sub_f32_e32 v103, v19, v17
	v_dual_sub_f32 v71, v15, v77 :: v_dual_sub_f32 v60, v16, v15
	v_sub_f32_e32 v95, v90, v92
	v_dual_add_f32 v105, v75, v88 :: v_dual_sub_f32 v112, v92, v94
	v_dual_add_f32 v106, v90, v92 :: v_dual_add_f32 v111, v88, v94
	v_sub_f32_e32 v65, v76, v78
	v_dual_sub_f32 v66, v87, v86 :: v_dual_sub_f32 v107, v17, v68
	v_dual_sub_f32 v76, v78, v76 :: v_dual_sub_f32 v99, v68, v58
	;; [unrolled: 1-line block ×3, first 2 shown]
	v_dual_sub_f32 v110, v94, v92 :: v_dual_add_f32 v113, v13, v18
	v_dual_add_f32 v114, v56, v62 :: v_dual_add_f32 v123, v98, v100
	v_dual_add_f32 v119, v18, v70 :: v_dual_add_f32 v148, v20, v16
	v_dual_add_f32 v122, v14, v96 :: v_dual_sub_f32 v147, v100, v102
	v_dual_sub_f32 v144, v96, v98 :: v_dual_add_f32 v149, v22, v57
	v_add_f32_e32 v146, v96, v102
	v_fma_f32 v15, -0.5, v21, v72
	v_add_f32_e32 v22, v63, v78
	v_fma_f32 v16, -0.5, v64, v73
	v_dual_sub_f32 v108, v19, v58 :: v_dual_sub_f32 v117, v18, v56
	v_dual_sub_f32 v88, v90, v88 :: v_dual_sub_f32 v115, v96, v102
	;; [unrolled: 1-line block ×3, first 2 shown]
	v_sub_f32_e32 v126, v18, v70
	v_sub_f32_e32 v96, v98, v96
	v_fma_f32 v17, -0.5, v59, v72
	v_fma_f32 v18, -0.5, v80, v73
	v_dual_sub_f32 v121, v62, v70 :: v_dual_add_f32 v72, v60, v61
	v_add_f32_e32 v59, v89, v19
	v_fma_f32 v19, -0.5, v91, v74
	v_fma_f32 v74, -0.5, v101, v74
	v_add_f32_e32 v61, v105, v90
	v_fma_f32 v20, -0.5, v106, v75
	v_dual_fmac_f32 v75, -0.5, v111 :: v_dual_sub_f32 v116, v98, v100
	v_sub_f32_e32 v143, v56, v62
	v_dual_sub_f32 v118, v70, v62 :: v_dual_add_f32 v73, v76, v81
	v_add_f32_e32 v78, v65, v66
	v_dual_add_f32 v76, v97, v99 :: v_dual_add_f32 v65, v122, v98
	v_add_f32_e32 v89, v103, v104
	v_dual_add_f32 v63, v113, v56 :: v_dual_add_f32 v98, v144, v145
	v_fma_f32 v80, -0.5, v114, v13
	v_fma_f32 v13, -0.5, v119, v13
	;; [unrolled: 1-line block ×3, first 2 shown]
	v_dual_fmac_f32 v14, -0.5, v146 :: v_dual_fmamk_f32 v21, v67, 0x3f737871, v15
	v_dual_fmac_f32 v15, 0xbf737871, v67 :: v_dual_add_f32 v86, v22, v86
	v_fmamk_f32 v22, v71, 0xbf737871, v16
	v_dual_add_f32 v90, v109, v110 :: v_dual_add_f32 v23, v148, v23
	v_add_f32_e32 v96, v96, v147
	v_dual_fmamk_f32 v56, v69, 0xbf737871, v17 :: v_dual_add_f32 v99, v59, v58
	v_fmac_f32_e32 v17, 0x3f737871, v69
	v_dual_fmamk_f32 v57, v79, 0x3f737871, v18 :: v_dual_fmamk_f32 v58, v93, 0x3f737871, v19
	v_fmac_f32_e32 v18, 0xbf737871, v79
	v_fmac_f32_e32 v16, 0x3f737871, v71
	v_fmamk_f32 v60, v95, 0xbf737871, v74
	v_dual_add_f32 v92, v61, v92 :: v_dual_fmamk_f32 v59, v107, 0xbf737871, v20
	v_fmac_f32_e32 v19, 0xbf737871, v93
	v_dual_fmac_f32 v74, 0x3f737871, v95 :: v_dual_add_f32 v101, v63, v62
	v_dual_fmac_f32 v20, 0x3f737871, v107 :: v_dual_fmamk_f32 v61, v108, 0x3f737871, v75
	v_fmac_f32_e32 v75, 0xbf737871, v108
	v_fmamk_f32 v62, v115, 0x3f737871, v80
	v_fmac_f32_e32 v80, 0xbf737871, v115
	v_fmamk_f32 v64, v116, 0xbf737871, v13
	v_fmac_f32_e32 v13, 0x3f737871, v116
	v_dual_add_f32 v100, v65, v100 :: v_dual_fmamk_f32 v65, v143, 0x3f737871, v14
	v_fmamk_f32 v63, v126, 0xbf737871, v81
	v_fmac_f32_e32 v81, 0x3f737871, v126
	v_fmac_f32_e32 v14, 0xbf737871, v143
	v_dual_fmac_f32 v21, 0x3f167918, v69 :: v_dual_fmac_f32 v56, 0x3f167918, v67
	v_dual_fmac_f32 v15, 0xbf167918, v69 :: v_dual_fmac_f32 v22, 0xbf167918, v79
	v_dual_add_f32 v66, v23, v77 :: v_dual_fmac_f32 v17, 0xbf167918, v67
	v_dual_fmac_f32 v57, 0xbf167918, v71 :: v_dual_add_f32 v68, v99, v68
	v_fmac_f32_e32 v18, 0x3f167918, v71
	v_fmac_f32_e32 v16, 0x3f167918, v79
	;; [unrolled: 1-line block ×3, first 2 shown]
	v_dual_fmac_f32 v60, 0x3f167918, v93 :: v_dual_fmac_f32 v75, 0x3f167918, v107
	v_dual_fmac_f32 v59, 0xbf167918, v108 :: v_dual_add_f32 v70, v101, v70
	v_dual_add_f32 v88, v88, v112 :: v_dual_add_f32 v91, v117, v118
	v_dual_fmac_f32 v19, 0xbf167918, v95 :: v_dual_fmac_f32 v74, 0xbf167918, v93
	v_dual_add_f32 v69, v92, v94 :: v_dual_fmac_f32 v20, 0x3f167918, v108
	v_fmac_f32_e32 v81, 0x3f167918, v143
	v_dual_fmac_f32 v61, 0xbf167918, v107 :: v_dual_fmac_f32 v80, 0xbf167918, v116
	v_add_f32_e32 v97, v120, v121
	v_dual_add_f32 v67, v86, v87 :: v_dual_fmac_f32 v62, 0x3f167918, v116
	v_fmac_f32_e32 v64, 0x3f167918, v115
	v_fmac_f32_e32 v13, 0xbf167918, v115
	v_add_f32_e32 v71, v100, v102
	v_fmac_f32_e32 v63, 0xbf167918, v143
	v_fmac_f32_e32 v65, 0xbf167918, v126
	;; [unrolled: 1-line block ×3, first 2 shown]
	v_dual_fmac_f32 v21, 0x3e9e377a, v149 :: v_dual_fmac_f32 v56, 0x3e9e377a, v72
	v_dual_fmac_f32 v15, 0x3e9e377a, v149 :: v_dual_fmac_f32 v22, 0x3e9e377a, v78
	v_dual_fmac_f32 v17, 0x3e9e377a, v72 :: v_dual_fmac_f32 v16, 0x3e9e377a, v78
	v_dual_fmac_f32 v57, 0x3e9e377a, v73 :: v_dual_fmac_f32 v58, 0x3e9e377a, v76
	v_dual_fmac_f32 v18, 0x3e9e377a, v73 :: v_dual_fmac_f32 v19, 0x3e9e377a, v76
	v_dual_fmac_f32 v60, 0x3e9e377a, v89 :: v_dual_fmac_f32 v59, 0x3e9e377a, v90
	v_dual_fmac_f32 v74, 0x3e9e377a, v89 :: v_dual_fmac_f32 v61, 0x3e9e377a, v88
	v_dual_fmac_f32 v20, 0x3e9e377a, v90 :: v_dual_fmac_f32 v75, 0x3e9e377a, v88
	global_wb scope:SCOPE_SE
	s_barrier_signal -1
	s_barrier_wait -1
	global_inv scope:SCOPE_SE
	v_dual_fmac_f32 v62, 0x3e9e377a, v91 :: v_dual_fmac_f32 v13, 0x3e9e377a, v97
	v_dual_fmac_f32 v80, 0x3e9e377a, v91 :: v_dual_fmac_f32 v63, 0x3e9e377a, v98
	v_dual_fmac_f32 v64, 0x3e9e377a, v97 :: v_dual_fmac_f32 v81, 0x3e9e377a, v98
	v_fmac_f32_e32 v65, 0x3e9e377a, v96
	v_fmac_f32_e32 v14, 0x3e9e377a, v96
	ds_store_2addr_b64 v132, v[66:67], v[21:22] offset1:51
	ds_store_2addr_b64 v132, v[56:57], v[17:18] offset0:102 offset1:153
	ds_store_b64 v132, v[15:16] offset:1632
	ds_store_2addr_b64 v131, v[68:69], v[58:59] offset1:51
	ds_store_2addr_b64 v131, v[60:61], v[74:75] offset0:102 offset1:153
	ds_store_b64 v131, v[19:20] offset:1632
	;; [unrolled: 3-line block ×3, first 2 shown]
	global_wb scope:SCOPE_SE
	s_wait_dscnt 0x0
	s_barrier_signal -1
	s_barrier_wait -1
	global_inv scope:SCOPE_SE
	ds_load_2addr_b64 v[88:91], v129 offset1:119
	ds_load_2addr_b64 v[96:99], v125 offset0:127 offset1:246
	ds_load_2addr_b64 v[100:103], v142 offset0:126 offset1:245
	;; [unrolled: 1-line block ×6, first 2 shown]
                                        ; implicit-def: $vgpr94
                                        ; implicit-def: $vgpr120
	s_and_saveexec_b32 s1, s0
	s_cbranch_execz .LBB0_9
; %bb.8:
	v_add_nc_u32_e32 v13, 0x770, v129
	v_add_nc_u32_e32 v14, 0x1760, v129
	;; [unrolled: 1-line block ×3, first 2 shown]
	ds_load_2addr_b64 v[80:83], v13 offset1:255
	ds_load_2addr_b64 v[84:87], v14 offset1:255
	;; [unrolled: 1-line block ×3, first 2 shown]
	ds_load_b64 v[120:121], v129 offset:14144
.LBB0_9:
	s_wait_alu 0xfffe
	s_or_b32 exec_lo, exec_lo, s1
	v_mad_co_u64_u32 v[13:14], null, v128, 48, s[2:3]
	s_clause 0x5
	global_load_b128 v[76:79], v[13:14], off offset:1904
	global_load_b128 v[68:71], v[13:14], off offset:1920
	;; [unrolled: 1-line block ×6, first 2 shown]
	v_subrev_nc_u32_e32 v13, 17, v128
	s_delay_alu instid0(VALU_DEP_1) | instskip(NEXT) | instid1(VALU_DEP_1)
	v_cndmask_b32_e64 v12, v13, v12, s0
	v_mul_i32_i24_e32 v13, 48, v12
	v_mul_hi_i32_i24_e32 v12, 48, v12
	s_delay_alu instid0(VALU_DEP_2) | instskip(SKIP_1) | instid1(VALU_DEP_2)
	v_add_co_u32 v20, s1, s2, v13
	s_wait_alu 0xf1ff
	v_add_co_ci_u32_e64 v21, s1, s3, v12, s1
	s_clause 0x2
	global_load_b128 v[16:19], v[20:21], off offset:1904
	global_load_b128 v[12:15], v[20:21], off offset:1920
	;; [unrolled: 1-line block ×3, first 2 shown]
	s_wait_loadcnt_dscnt 0x804
	v_dual_mul_f32 v122, v97, v77 :: v_dual_mul_f32 v143, v100, v79
	v_dual_mul_f32 v123, v96, v77 :: v_dual_mul_f32 v126, v101, v79
	s_wait_loadcnt 0x5
	v_dual_mul_f32 v152, v99, v73 :: v_dual_mul_f32 v155, v102, v75
	s_wait_loadcnt_dscnt 0x402
	v_dual_mul_f32 v157, v106, v65 :: v_dual_mul_f32 v158, v111, v67
	s_wait_loadcnt_dscnt 0x300
	v_dual_mul_f32 v161, v114, v61 :: v_dual_mul_f32 v162, v119, v63
	v_dual_mul_f32 v144, v105, v69 :: v_dual_mul_f32 v147, v108, v71
	;; [unrolled: 1-line block ×8, first 2 shown]
	v_fma_f32 v98, v98, v72, -v152
	v_fmac_f32_e32 v157, v107, v64
	v_fma_f32 v107, v118, v62, -v162
	v_fma_f32 v96, v96, v76, -v122
	v_fmac_f32_e32 v149, v113, v56
	v_fmac_f32_e32 v155, v103, v74
	v_fma_f32 v103, v110, v66, -v158
	v_fmac_f32_e32 v153, v99, v72
	v_fma_f32 v99, v102, v74, -v154
	v_fma_f32 v102, v106, v64, -v156
	;; [unrolled: 1-line block ×3, first 2 shown]
	v_dual_add_f32 v114, v98, v107 :: v_dual_fmac_f32 v145, v105, v68
	v_fma_f32 v105, v116, v58, -v150
	v_fmac_f32_e32 v123, v97, v76
	v_fma_f32 v97, v100, v78, -v126
	v_fmac_f32_e32 v143, v101, v78
	v_fma_f32 v100, v104, v68, -v144
	v_fma_f32 v101, v108, v70, -v146
	;; [unrolled: 1-line block ×3, first 2 shown]
	v_fmac_f32_e32 v147, v109, v70
	v_dual_fmac_f32 v151, v117, v58 :: v_dual_sub_f32 v98, v98, v107
	v_fmac_f32_e32 v159, v111, v66
	s_wait_loadcnt 0x1
	v_dual_fmac_f32 v161, v115, v60 :: v_dual_mul_f32 v146, v93, v15
	s_wait_loadcnt 0x0
	v_dual_fmac_f32 v163, v119, v62 :: v_dual_mul_f32 v150, v121, v23
	v_add_f32_e32 v110, v97, v104
	v_dual_sub_f32 v97, v97, v104 :: v_dual_add_f32 v116, v99, v106
	v_add_f32_e32 v112, v100, v101
	v_sub_f32_e32 v100, v101, v100
	v_dual_add_f32 v108, v96, v105 :: v_dual_add_f32 v109, v123, v151
	v_dual_sub_f32 v96, v96, v105 :: v_dual_sub_f32 v105, v123, v151
	v_add_f32_e32 v111, v143, v149
	v_dual_sub_f32 v104, v143, v149 :: v_dual_add_f32 v113, v145, v147
	v_sub_f32_e32 v101, v147, v145
	v_add_f32_e32 v117, v155, v161
	v_dual_sub_f32 v99, v99, v106 :: v_dual_add_f32 v156, v100, v97
	v_sub_f32_e32 v106, v155, v161
	v_add_f32_e32 v118, v102, v103
	v_dual_add_f32 v115, v153, v163 :: v_dual_sub_f32 v102, v103, v102
	v_dual_sub_f32 v107, v153, v163 :: v_dual_mul_f32 v122, v83, v17
	v_dual_mul_f32 v123, v82, v17 :: v_dual_sub_f32 v162, v116, v114
	v_mul_f32_e32 v126, v85, v19
	v_dual_add_f32 v119, v157, v159 :: v_dual_mul_f32 v144, v87, v13
	v_dual_sub_f32 v103, v159, v157 :: v_dual_add_f32 v160, v116, v114
	v_dual_mul_f32 v143, v84, v19 :: v_dual_mul_f32 v148, v95, v21
	v_dual_mul_f32 v145, v86, v13 :: v_dual_sub_f32 v168, v99, v98
	v_dual_mul_f32 v151, v120, v23 :: v_dual_sub_f32 v116, v118, v116
	;; [unrolled: 1-line block ×3, first 2 shown]
	v_add_f32_e32 v152, v110, v108
	v_mul_f32_e32 v149, v94, v21
	v_sub_f32_e32 v154, v110, v108
	v_dual_sub_f32 v108, v108, v112 :: v_dual_add_f32 v153, v111, v109
	v_dual_add_f32 v164, v102, v99 :: v_dual_sub_f32 v155, v111, v109
	v_sub_f32_e32 v166, v102, v99
	v_dual_sub_f32 v110, v112, v110 :: v_dual_sub_f32 v111, v113, v111
	v_dual_sub_f32 v158, v100, v97 :: v_dual_add_f32 v157, v101, v104
	v_sub_f32_e32 v159, v101, v104
	v_sub_f32_e32 v100, v96, v100
	v_dual_sub_f32 v104, v104, v105 :: v_dual_add_f32 v161, v117, v115
	v_dual_sub_f32 v163, v117, v115 :: v_dual_add_f32 v118, v118, v160
	v_sub_f32_e32 v117, v119, v117
	v_sub_f32_e32 v167, v103, v106
	v_fma_f32 v82, v82, v16, -v122
	v_fmac_f32_e32 v123, v83, v16
	v_fma_f32 v83, v84, v18, -v126
	v_fma_f32 v84, v86, v12, -v144
	v_fmac_f32_e32 v145, v87, v12
	v_fma_f32 v86, v94, v20, -v148
	v_mul_f32_e32 v148, 0xbf08b237, v166
	v_fma_f32 v87, v120, v22, -v150
	v_fmac_f32_e32 v151, v121, v22
	v_dual_sub_f32 v109, v109, v113 :: v_dual_sub_f32 v102, v98, v102
	v_sub_f32_e32 v101, v105, v101
	v_sub_f32_e32 v97, v97, v96
	v_add_f32_e32 v165, v103, v106
	v_dual_sub_f32 v103, v107, v103 :: v_dual_mul_f32 v114, 0x3f4a47b2, v114
	v_add_f32_e32 v94, v112, v152
	v_fmac_f32_e32 v149, v95, v20
	v_add_f32_e32 v96, v156, v96
	v_add_f32_e32 v156, v82, v87
	v_mul_f32_e32 v112, 0x3d64c772, v111
	v_dual_mul_f32 v144, 0x3d64c772, v116 :: v_dual_fmac_f32 v143, v85, v18
	v_mul_f32_e32 v150, 0xbf08b237, v167
	v_fma_f32 v85, v92, v14, -v146
	v_mul_f32_e32 v99, 0x3f4a47b2, v108
	v_add_f32_e32 v105, v157, v105
	v_mul_f32_e32 v146, 0x3d64c772, v117
	v_sub_f32_e32 v82, v82, v87
	v_add_f32_e32 v157, v123, v151
	v_sub_f32_e32 v87, v123, v151
	v_add_f32_e32 v123, v83, v86
	v_dual_sub_f32 v115, v115, v119 :: v_dual_add_f32 v126, v164, v98
	v_dual_sub_f32 v106, v106, v107 :: v_dual_fmac_f32 v147, v93, v14
	v_dual_mul_f32 v152, 0x3f5ff5aa, v168 :: v_dual_add_f32 v95, v113, v153
	v_add_f32_e32 v92, v88, v94
	v_mul_f32_e32 v108, 0x3f4a47b2, v109
	v_mul_f32_e32 v109, 0x3d64c772, v110
	v_dual_mul_f32 v113, 0xbf08b237, v158 :: v_dual_mul_f32 v120, 0xbf08b237, v159
	v_dual_mul_f32 v121, 0x3f5ff5aa, v97 :: v_dual_add_f32 v98, v90, v118
	v_dual_mul_f32 v122, 0x3f5ff5aa, v104 :: v_dual_add_f32 v107, v165, v107
	v_dual_fmamk_f32 v90, v116, 0x3d64c772, v114 :: v_dual_sub_f32 v83, v83, v86
	v_add_f32_e32 v151, v143, v149
	v_sub_f32_e32 v86, v143, v149
	v_dual_add_f32 v143, v84, v85 :: v_dual_sub_f32 v84, v85, v84
	v_add_f32_e32 v116, v123, v156
	v_add_f32_e32 v119, v119, v161
	v_dual_add_f32 v149, v145, v147 :: v_dual_fmamk_f32 v94, v94, 0xbf955555, v92
	v_dual_sub_f32 v85, v147, v145 :: v_dual_fmamk_f32 v88, v110, 0x3d64c772, v99
	v_fma_f32 v109, 0x3f3bfb3b, v154, -v109
	v_fma_f32 v110, 0x3f3bfb3b, v155, -v112
	v_dual_fmamk_f32 v112, v100, 0x3eae86e6, v113 :: v_dual_add_f32 v93, v89, v95
	v_fmamk_f32 v145, v101, 0x3eae86e6, v120
	v_fma_f32 v97, 0x3f5ff5aa, v97, -v113
	v_fma_f32 v104, 0x3f5ff5aa, v104, -v120
	;; [unrolled: 1-line block ×6, first 2 shown]
	v_fmamk_f32 v144, v102, 0x3eae86e6, v148
	v_fmamk_f32 v146, v103, 0x3eae86e6, v150
	v_mul_f32_e32 v153, 0x3f5ff5aa, v106
	v_fma_f32 v147, 0x3f5ff5aa, v168, -v148
	v_sub_f32_e32 v148, v156, v143
	v_fma_f32 v102, 0xbeae86e6, v102, -v152
	v_dual_add_f32 v152, v84, v83 :: v_dual_fmamk_f32 v89, v111, 0x3d64c772, v108
	v_fma_f32 v111, 0xbf3bfb3b, v154, -v99
	v_dual_add_f32 v99, v91, v119 :: v_dual_fmac_f32 v104, 0x3ee1c552, v105
	v_sub_f32_e32 v154, v84, v83
	v_dual_mul_f32 v115, 0x3f4a47b2, v115 :: v_dual_sub_f32 v122, v151, v157
	v_fma_f32 v108, 0xbf3bfb3b, v155, -v108
	v_fma_f32 v114, 0xbf3bfb3b, v162, -v114
	v_fma_f32 v106, 0x3f5ff5aa, v106, -v150
	s_delay_alu instid0(VALU_DEP_4)
	v_fmamk_f32 v91, v117, 0x3d64c772, v115
	v_fma_f32 v103, 0xbeae86e6, v103, -v153
	v_add_f32_e32 v117, v151, v157
	v_dual_sub_f32 v121, v123, v156 :: v_dual_fmac_f32 v120, 0x3ee1c552, v105
	v_dual_sub_f32 v150, v157, v149 :: v_dual_sub_f32 v123, v143, v123
	v_dual_fmac_f32 v144, 0x3ee1c552, v126 :: v_dual_sub_f32 v151, v149, v151
	v_fmac_f32_e32 v102, 0x3ee1c552, v126
	v_dual_sub_f32 v155, v85, v86 :: v_dual_fmac_f32 v106, 0x3ee1c552, v107
	v_fmac_f32_e32 v112, 0x3ee1c552, v96
	v_dual_fmamk_f32 v95, v95, 0xbf955555, v93 :: v_dual_add_f32 v88, v88, v94
	v_fmac_f32_e32 v97, 0x3ee1c552, v96
	v_dual_fmac_f32 v147, 0x3ee1c552, v126 :: v_dual_add_f32 v126, v143, v116
	s_delay_alu instid0(VALU_DEP_3)
	v_dual_fmac_f32 v145, 0x3ee1c552, v105 :: v_dual_add_f32 v110, v110, v95
	v_fmamk_f32 v105, v119, 0xbf955555, v99
	v_fmac_f32_e32 v113, 0x3ee1c552, v96
	v_dual_fmamk_f32 v96, v118, 0xbf955555, v98 :: v_dual_add_f32 v153, v85, v86
	v_fmac_f32_e32 v146, 0x3ee1c552, v107
	v_dual_sub_f32 v84, v82, v84 :: v_dual_sub_f32 v83, v83, v82
	v_dual_sub_f32 v86, v86, v87 :: v_dual_sub_f32 v85, v87, v85
	v_mul_f32_e32 v116, 0x3f4a47b2, v150
	v_fmac_f32_e32 v103, 0x3ee1c552, v107
	s_delay_alu instid0(VALU_DEP_3)
	v_dual_add_f32 v143, v149, v117 :: v_dual_mul_f32 v150, 0x3f5ff5aa, v86
	v_dual_mul_f32 v118, 0x3d64c772, v151 :: v_dual_add_f32 v111, v111, v94
	v_mul_f32_e32 v107, 0x3f4a47b2, v148
	v_dual_mul_f32 v148, 0xbf08b237, v155 :: v_dual_add_f32 v155, v114, v96
	v_dual_add_f32 v82, v152, v82 :: v_dual_add_f32 v89, v89, v95
	v_add_f32_e32 v109, v109, v94
	v_dual_mul_f32 v119, 0xbf08b237, v154 :: v_dual_add_f32 v90, v90, v96
	v_add_f32_e32 v154, v101, v105
	v_add_f32_e32 v101, v81, v143
	v_fmamk_f32 v81, v151, 0x3d64c772, v116
	v_fma_f32 v156, 0x3f3bfb3b, v122, -v118
	v_fma_f32 v158, 0xbf3bfb3b, v122, -v116
	v_fmamk_f32 v160, v85, 0x3eae86e6, v148
	v_mul_f32_e32 v149, 0x3f5ff5aa, v83
	v_add_f32_e32 v116, v120, v111
	v_add_f32_e32 v87, v153, v87
	;; [unrolled: 1-line block ×5, first 2 shown]
	v_dual_mul_f32 v117, 0x3d64c772, v123 :: v_dual_sub_f32 v118, v109, v104
	v_fma_f32 v115, 0xbf3bfb3b, v163, -v115
	v_dual_add_f32 v152, v108, v95 :: v_dual_add_f32 v91, v91, v105
	v_fmamk_f32 v80, v123, 0x3d64c772, v107
	s_delay_alu instid0(VALU_DEP_4)
	v_fma_f32 v151, 0x3f3bfb3b, v121, -v117
	v_fma_f32 v157, 0xbf3bfb3b, v121, -v107
	v_fma_f32 v86, 0x3f5ff5aa, v86, -v148
	v_add_f32_e32 v108, v104, v109
	v_fmamk_f32 v159, v84, 0x3eae86e6, v119
	v_fma_f32 v161, 0x3f5ff5aa, v83, -v119
	s_delay_alu instid0(VALU_DEP_4)
	v_dual_add_f32 v119, v97, v110 :: v_dual_fmac_f32 v86, 0x3ee1c552, v87
	v_dual_sub_f32 v109, v110, v97 :: v_dual_sub_f32 v110, v111, v120
	v_fma_f32 v148, 0xbeae86e6, v84, -v149
	v_fma_f32 v149, 0xbeae86e6, v85, -v150
	v_sub_f32_e32 v96, v88, v145
	v_sub_f32_e32 v104, v155, v103
	v_add_f32_e32 v114, v106, v153
	v_dual_fmac_f32 v148, 0x3ee1c552, v82 :: v_dual_sub_f32 v95, v89, v112
	v_dual_fmamk_f32 v84, v143, 0xbf955555, v101 :: v_dual_fmamk_f32 v83, v126, 0xbf955555, v100
	v_dual_add_f32 v105, v115, v105 :: v_dual_add_f32 v94, v145, v88
	v_dual_sub_f32 v117, v152, v113 :: v_dual_fmac_f32 v160, 0x3ee1c552, v87
	v_add_f32_e32 v120, v146, v90
	v_fmac_f32_e32 v161, 0x3ee1c552, v82
	v_fmac_f32_e32 v149, 0x3ee1c552, v87
	v_dual_add_f32 v80, v80, v83 :: v_dual_add_f32 v81, v81, v84
	v_add_f32_e32 v85, v151, v83
	v_sub_f32_e32 v121, v91, v144
	v_add_f32_e32 v87, v157, v83
	v_dual_add_f32 v97, v112, v89 :: v_dual_sub_f32 v112, v153, v106
	v_sub_f32_e32 v106, v90, v146
	v_add_f32_e32 v90, v158, v84
	s_delay_alu instid0(VALU_DEP_4)
	v_dual_add_f32 v88, v149, v87 :: v_dual_fmac_f32 v159, 0x3ee1c552, v82
	v_add_f32_e32 v107, v144, v91
	v_add_f32_e32 v91, v156, v84
	v_dual_add_f32 v111, v113, v152 :: v_dual_add_f32 v84, v86, v85
	v_sub_f32_e32 v123, v105, v102
	v_add_f32_e32 v113, v147, v154
	v_sub_f32_e32 v115, v154, v147
	v_dual_add_f32 v105, v102, v105 :: v_dual_add_f32 v102, v160, v80
	v_sub_f32_e32 v103, v81, v159
	v_dual_sub_f32 v89, v90, v148 :: v_dual_sub_f32 v82, v85, v86
	v_sub_f32_e32 v86, v87, v149
	ds_store_2addr_b64 v125, v[94:95], v[120:121] offset0:127 offset1:246
	v_add_f32_e32 v83, v161, v91
	v_sub_f32_e32 v85, v91, v161
	v_add_f32_e32 v87, v148, v90
	v_dual_sub_f32 v125, v80, v160 :: v_dual_add_f32 v126, v159, v81
	ds_store_2addr_b64 v129, v[92:93], v[98:99] offset1:119
	ds_store_2addr_b64 v142, v[116:117], v[122:123] offset0:126 offset1:245
	ds_store_2addr_b64 v140, v[118:119], v[112:113] offset0:125 offset1:244
	;; [unrolled: 1-line block ×5, first 2 shown]
	s_and_saveexec_b32 s1, s0
	s_cbranch_execz .LBB0_11
; %bb.10:
	v_add_nc_u32_e32 v80, 0x770, v129
	v_add_nc_u32_e32 v81, 0x1760, v129
	;; [unrolled: 1-line block ×3, first 2 shown]
	ds_store_2addr_b64 v80, v[100:101], v[102:103] offset1:255
	ds_store_2addr_b64 v81, v[88:89], v[82:83] offset1:255
	;; [unrolled: 1-line block ×3, first 2 shown]
	ds_store_b64 v129, v[125:126] offset:14144
.LBB0_11:
	s_wait_alu 0xfffe
	s_or_b32 exec_lo, exec_lo, s1
	global_wb scope:SCOPE_SE
	s_wait_dscnt 0x0
	s_barrier_signal -1
	s_barrier_wait -1
	global_inv scope:SCOPE_SE
	s_and_saveexec_b32 s1, vcc_lo
	s_cbranch_execz .LBB0_13
; %bb.12:
	global_load_b64 v[80:81], v127, s[8:9] offset:14280
	s_add_nc_u64 s[2:3], s[8:9], 0x37c8
	s_clause 0xf
	global_load_b64 v[90:91], v127, s[2:3] offset:840
	global_load_b64 v[170:171], v127, s[2:3] offset:1680
	;; [unrolled: 1-line block ×16, first 2 shown]
	ds_load_b64 v[138:139], v129
	v_add_nc_u32_e32 v200, 0x800, v127
	v_add_nc_u32_e32 v201, 0x1000, v127
	;; [unrolled: 1-line block ×3, first 2 shown]
	s_wait_loadcnt_dscnt 0x1000
	v_mul_f32_e32 v140, v139, v81
	v_mul_f32_e32 v141, v138, v81
	s_delay_alu instid0(VALU_DEP_2) | instskip(NEXT) | instid1(VALU_DEP_2)
	v_fma_f32 v140, v138, v80, -v140
	v_fmac_f32_e32 v141, v139, v80
	ds_store_b64 v129, v[140:141]
	ds_load_2addr_b64 v[138:141], v127 offset0:105 offset1:210
	ds_load_2addr_b64 v[142:145], v200 offset0:59 offset1:164
	;; [unrolled: 1-line block ×3, first 2 shown]
	v_add_nc_u32_e32 v203, 0x1c00, v127
	v_add_nc_u32_e32 v204, 0x2000, v127
	;; [unrolled: 1-line block ×3, first 2 shown]
	ds_load_2addr_b64 v[150:153], v202 offset0:95 offset1:200
	v_add_nc_u32_e32 v206, 0x3000, v127
	s_wait_loadcnt_dscnt 0xf03
	v_mul_f32_e32 v80, v139, v91
	v_mul_f32_e32 v81, v138, v91
	s_wait_loadcnt 0xe
	v_mul_f32_e32 v207, v141, v171
	s_wait_loadcnt_dscnt 0xd02
	v_dual_mul_f32 v91, v140, v171 :: v_dual_mul_f32 v208, v143, v173
	v_mul_f32_e32 v171, v142, v173
	s_wait_loadcnt 0xc
	v_mul_f32_e32 v209, v145, v175
	s_wait_loadcnt_dscnt 0xb01
	v_dual_mul_f32 v173, v144, v175 :: v_dual_mul_f32 v210, v147, v177
	v_mul_f32_e32 v175, v146, v177
	ds_load_2addr_b64 v[154:157], v203 offset0:49 offset1:154
	ds_load_2addr_b64 v[158:161], v204 offset0:131 offset1:236
	;; [unrolled: 1-line block ×4, first 2 shown]
	s_wait_loadcnt 0xa
	v_mul_f32_e32 v211, v149, v179
	s_wait_loadcnt_dscnt 0x904
	v_dual_mul_f32 v177, v148, v179 :: v_dual_mul_f32 v212, v151, v181
	v_mul_f32_e32 v179, v150, v181
	s_wait_loadcnt 0x8
	v_mul_f32_e32 v213, v153, v183
	v_mul_f32_e32 v181, v152, v183
	v_fma_f32 v80, v138, v90, -v80
	v_fmac_f32_e32 v81, v139, v90
	v_fmac_f32_e32 v171, v143, v172
	;; [unrolled: 1-line block ×5, first 2 shown]
	s_wait_loadcnt_dscnt 0x703
	v_dual_fmac_f32 v181, v153, v182 :: v_dual_mul_f32 v214, v155, v185
	v_mul_f32_e32 v183, v154, v185
	s_wait_loadcnt_dscnt 0x100
	v_dual_mul_f32 v215, v157, v187 :: v_dual_mul_f32 v220, v167, v197
	v_dual_mul_f32 v185, v156, v187 :: v_dual_mul_f32 v216, v159, v189
	v_mul_f32_e32 v187, v158, v189
	v_mul_f32_e32 v217, v161, v191
	v_dual_mul_f32 v189, v160, v191 :: v_dual_mul_f32 v218, v163, v193
	v_mul_f32_e32 v191, v162, v193
	v_mul_f32_e32 v219, v165, v195
	;; [unrolled: 1-line block ×4, first 2 shown]
	s_wait_loadcnt 0x0
	v_mul_f32_e32 v221, v169, v199
	v_mul_f32_e32 v197, v168, v199
	v_fma_f32 v90, v140, v170, -v207
	v_fmac_f32_e32 v91, v141, v170
	v_fma_f32 v170, v142, v172, -v208
	v_fma_f32 v172, v144, v174, -v209
	v_fmac_f32_e32 v173, v145, v174
	v_fma_f32 v174, v146, v176, -v210
	v_fma_f32 v176, v148, v178, -v211
	;; [unrolled: 1-line block ×5, first 2 shown]
	v_fmac_f32_e32 v183, v155, v184
	v_fma_f32 v184, v156, v186, -v215
	v_fmac_f32_e32 v185, v157, v186
	v_fma_f32 v186, v158, v188, -v216
	;; [unrolled: 2-line block ×7, first 2 shown]
	v_fmac_f32_e32 v197, v169, v198
	ds_store_2addr_b64 v127, v[80:81], v[90:91] offset0:105 offset1:210
	ds_store_2addr_b64 v200, v[170:171], v[172:173] offset0:59 offset1:164
	ds_store_2addr_b64 v201, v[174:175], v[176:177] offset0:13 offset1:118
	ds_store_2addr_b64 v202, v[178:179], v[180:181] offset0:95 offset1:200
	ds_store_2addr_b64 v203, v[182:183], v[184:185] offset0:49 offset1:154
	ds_store_2addr_b64 v204, v[186:187], v[188:189] offset0:131 offset1:236
	ds_store_2addr_b64 v205, v[190:191], v[192:193] offset0:85 offset1:190
	ds_store_2addr_b64 v206, v[194:195], v[196:197] offset0:39 offset1:144
.LBB0_13:
	s_wait_alu 0xfffe
	s_or_b32 exec_lo, exec_lo, s1
	global_wb scope:SCOPE_SE
	s_wait_dscnt 0x0
	s_barrier_signal -1
	s_barrier_wait -1
	global_inv scope:SCOPE_SE
	s_and_saveexec_b32 s1, vcc_lo
	s_cbranch_execz .LBB0_15
; %bb.14:
	v_add_nc_u32_e32 v80, 0x400, v129
	v_add_nc_u32_e32 v81, 0xc00, v129
	v_add_nc_u32_e32 v88, 0x1000, v129
	ds_load_2addr_b64 v[92:95], v129 offset1:105
	v_add_nc_u32_e32 v89, 0x2400, v129
	ds_load_2addr_b64 v[116:119], v80 offset0:82 offset1:187
	ds_load_2addr_b64 v[108:111], v81 offset0:36 offset1:141
	v_add_nc_u32_e32 v80, 0x1800, v129
	v_add_nc_u32_e32 v81, 0x2000, v129
	;; [unrolled: 1-line block ×3, first 2 shown]
	ds_load_2addr_b64 v[96:99], v88 offset0:118 offset1:223
	ds_load_2addr_b64 v[120:123], v80 offset0:72 offset1:177
	ds_load_2addr_b64 v[112:115], v81 offset0:26 offset1:131
	ds_load_2addr_b64 v[104:107], v89 offset0:108 offset1:213
	ds_load_2addr_b64 v[100:103], v90 offset0:62 offset1:167
	ds_load_b64 v[88:89], v129 offset:13440
.LBB0_15:
	s_wait_alu 0xfffe
	s_or_b32 exec_lo, exec_lo, s1
	s_wait_dscnt 0x0
	v_dual_sub_f32 v186, v95, v89 :: v_dual_add_f32 v195, v89, v95
	v_dual_add_f32 v182, v88, v94 :: v_dual_sub_f32 v187, v94, v88
	s_delay_alu instid0(VALU_DEP_2) | instskip(SKIP_1) | instid1(VALU_DEP_4)
	v_dual_sub_f32 v157, v117, v103 :: v_dual_mul_f32 v200, 0xbf2c7751, v186
	v_dual_mul_f32 v198, 0xbeb8f4ab, v186 :: v_dual_add_f32 v151, v103, v117
	v_dual_mul_f32 v199, 0x3f6eb680, v195 :: v_dual_add_f32 v138, v102, v116
	s_delay_alu instid0(VALU_DEP_3) | instskip(NEXT) | instid1(VALU_DEP_3)
	v_fma_f32 v90, 0x3f3d2fb0, v182, -v200
	v_fma_f32 v80, 0x3f6eb680, v182, -v198
	v_mul_f32_e32 v201, 0x3f3d2fb0, v195
	s_delay_alu instid0(VALU_DEP_4) | instskip(SKIP_2) | instid1(VALU_DEP_4)
	v_fmamk_f32 v81, v187, 0xbeb8f4ab, v199
	v_dual_sub_f32 v139, v116, v102 :: v_dual_mul_f32 v152, 0xbf7ee86f, v157
	v_add_f32_e32 v90, v92, v90
	v_dual_mul_f32 v180, 0xbf2c7751, v157 :: v_dual_fmamk_f32 v91, v187, 0xbf2c7751, v201
	v_dual_add_f32 v80, v92, v80 :: v_dual_mul_f32 v181, 0x3f3d2fb0, v151
	v_dual_sub_f32 v161, v119, v101 :: v_dual_mul_f32 v154, 0x3dbcf732, v151
	s_delay_alu instid0(VALU_DEP_3) | instskip(SKIP_3) | instid1(VALU_DEP_4)
	v_fma_f32 v140, 0x3f3d2fb0, v138, -v180
	v_add_f32_e32 v81, v93, v81
	v_add_f32_e32 v158, v101, v119
	v_fma_f32 v142, 0x3dbcf732, v138, -v152
	v_dual_mul_f32 v183, 0xbf65296c, v161 :: v_dual_add_f32 v80, v140, v80
	v_dual_add_f32 v140, v100, v118 :: v_dual_fmamk_f32 v141, v139, 0xbf2c7751, v181
	s_delay_alu instid0(VALU_DEP_4) | instskip(SKIP_2) | instid1(VALU_DEP_4)
	v_dual_add_f32 v91, v93, v91 :: v_dual_mul_f32 v184, 0x3ee437d1, v158
	v_dual_fmamk_f32 v143, v139, 0xbf7ee86f, v154 :: v_dual_sub_f32 v166, v109, v107
	v_add_f32_e32 v90, v142, v90
	v_fma_f32 v144, 0x3ee437d1, v140, -v183
	v_add_f32_e32 v81, v141, v81
	v_dual_sub_f32 v141, v118, v100 :: v_dual_mul_f32 v156, 0xbf1a4643, v158
	v_dual_add_f32 v91, v143, v91 :: v_dual_add_f32 v142, v106, v108
	s_delay_alu instid0(VALU_DEP_2) | instskip(SKIP_4) | instid1(VALU_DEP_4)
	v_dual_add_f32 v80, v144, v80 :: v_dual_fmamk_f32 v143, v141, 0xbf65296c, v184
	v_add_f32_e32 v162, v107, v109
	v_mul_f32_e32 v155, 0xbf4c4adb, v161
	v_mul_f32_e32 v185, 0xbf7ee86f, v166
	v_dual_fmamk_f32 v145, v141, 0xbf4c4adb, v156 :: v_dual_sub_f32 v170, v111, v105
	v_dual_add_f32 v81, v143, v81 :: v_dual_mul_f32 v188, 0x3dbcf732, v162
	s_delay_alu instid0(VALU_DEP_4) | instskip(NEXT) | instid1(VALU_DEP_4)
	v_fma_f32 v144, 0xbf1a4643, v140, -v155
	v_fma_f32 v146, 0x3dbcf732, v142, -v185
	v_dual_mul_f32 v160, 0xbf7ba420, v162 :: v_dual_add_f32 v167, v105, v111
	v_sub_f32_e32 v143, v108, v106
	s_delay_alu instid0(VALU_DEP_4) | instskip(NEXT) | instid1(VALU_DEP_4)
	v_add_f32_e32 v90, v144, v90
	v_add_f32_e32 v80, v146, v80
	;; [unrolled: 1-line block ×3, first 2 shown]
	v_mul_f32_e32 v190, 0xbe8c1d8e, v167
	v_dual_add_f32 v91, v145, v91 :: v_dual_fmamk_f32 v146, v143, 0xbf7ee86f, v188
	v_dual_mul_f32 v159, 0xbe3c28d5, v166 :: v_dual_fmamk_f32 v148, v143, 0xbe3c28d5, v160
	v_sub_f32_e32 v145, v110, v104
	v_mul_f32_e32 v189, 0xbf763a35, v170
	v_dual_sub_f32 v175, v97, v115 :: v_dual_add_f32 v172, v115, v97
	s_delay_alu instid0(VALU_DEP_4) | instskip(SKIP_3) | instid1(VALU_DEP_4)
	v_fma_f32 v147, 0xbf7ba420, v142, -v159
	v_add_f32_e32 v81, v146, v81
	v_dual_add_f32 v91, v148, v91 :: v_dual_fmamk_f32 v148, v145, 0xbf763a35, v190
	v_fma_f32 v149, 0xbe8c1d8e, v144, -v189
	v_add_f32_e32 v90, v147, v90
	v_dual_mul_f32 v163, 0x3f06c442, v170 :: v_dual_add_f32 v146, v114, v96
	v_dual_mul_f32 v164, 0xbf59a7d5, v167 :: v_dual_sub_f32 v147, v96, v114
	v_dual_mul_f32 v192, 0xbf1a4643, v172 :: v_dual_add_f32 v81, v148, v81
	v_dual_mul_f32 v191, 0xbf4c4adb, v175 :: v_dual_add_f32 v80, v149, v80
	s_delay_alu instid0(VALU_DEP_4) | instskip(NEXT) | instid1(VALU_DEP_3)
	v_fma_f32 v149, 0xbf59a7d5, v144, -v163
	v_fmamk_f32 v148, v147, 0xbf4c4adb, v192
	v_fmamk_f32 v150, v145, 0x3f06c442, v164
	s_delay_alu instid0(VALU_DEP_4) | instskip(SKIP_2) | instid1(VALU_DEP_3)
	v_fma_f32 v153, 0xbf1a4643, v146, -v191
	v_mul_f32_e32 v165, 0x3f763a35, v175
	v_dual_sub_f32 v177, v99, v113 :: v_dual_mul_f32 v168, 0xbe8c1d8e, v172
	v_dual_add_f32 v81, v148, v81 :: v_dual_add_f32 v80, v153, v80
	v_dual_add_f32 v90, v149, v90 :: v_dual_add_f32 v91, v150, v91
	s_delay_alu instid0(VALU_DEP_4) | instskip(SKIP_2) | instid1(VALU_DEP_3)
	v_fma_f32 v150, 0xbe8c1d8e, v146, -v165
	v_dual_add_f32 v148, v112, v98 :: v_dual_sub_f32 v149, v98, v112
	v_dual_mul_f32 v169, 0x3f65296c, v177 :: v_dual_add_f32 v176, v113, v99
	v_dual_mul_f32 v193, 0xbf06c442, v177 :: v_dual_add_f32 v90, v150, v90
	v_add_f32_e32 v178, v123, v121
	s_delay_alu instid0(VALU_DEP_3) | instskip(SKIP_1) | instid1(VALU_DEP_4)
	v_fma_f32 v173, 0x3ee437d1, v148, -v169
	v_fmamk_f32 v153, v147, 0x3f763a35, v168
	v_fma_f32 v171, 0xbf59a7d5, v148, -v193
	v_sub_f32_e32 v179, v121, v123
	global_wb scope:SCOPE_SE
	v_add_f32_e32 v90, v173, v90
	v_dual_mul_f32 v194, 0xbf59a7d5, v176 :: v_dual_add_f32 v91, v153, v91
	v_sub_f32_e32 v153, v120, v122
	s_barrier_signal -1
	s_barrier_wait -1
	s_delay_alu instid0(VALU_DEP_2)
	v_fmamk_f32 v150, v149, 0xbf06c442, v194
	v_add_f32_e32 v80, v171, v80
	v_mul_f32_e32 v171, 0x3ee437d1, v176
	global_inv scope:SCOPE_SE
	v_add_f32_e32 v81, v150, v81
	v_dual_mul_f32 v197, 0xbf7ba420, v178 :: v_dual_add_f32 v150, v122, v120
	v_mul_f32_e32 v196, 0xbe3c28d5, v179
	v_mul_f32_e32 v173, 0x3eb8f4ab, v179
	s_delay_alu instid0(VALU_DEP_3) | instskip(SKIP_1) | instid1(VALU_DEP_3)
	v_fmamk_f32 v203, v153, 0xbe3c28d5, v197
	v_fmamk_f32 v202, v149, 0x3f65296c, v171
	v_fma_f32 v204, 0x3f6eb680, v150, -v173
	s_delay_alu instid0(VALU_DEP_3) | instskip(NEXT) | instid1(VALU_DEP_3)
	v_dual_add_f32 v81, v203, v81 :: v_dual_mul_f32 v174, 0x3f6eb680, v178
	v_add_f32_e32 v91, v202, v91
	v_fma_f32 v202, 0xbf7ba420, v150, -v196
	s_delay_alu instid0(VALU_DEP_3) | instskip(NEXT) | instid1(VALU_DEP_1)
	v_dual_add_f32 v90, v204, v90 :: v_dual_fmamk_f32 v205, v153, 0x3eb8f4ab, v174
	v_dual_add_f32 v80, v202, v80 :: v_dual_add_f32 v91, v205, v91
	s_and_saveexec_b32 s1, vcc_lo
	s_cbranch_execz .LBB0_17
; %bb.16:
	v_dual_add_f32 v95, v95, v93 :: v_dual_add_f32 v94, v94, v92
	v_mul_f32_e32 v203, 0xbf06c442, v166
	v_dual_mul_f32 v207, 0x3f65296c, v153 :: v_dual_mul_f32 v208, 0x3f65296c, v179
	s_delay_alu instid0(VALU_DEP_3) | instskip(SKIP_3) | instid1(VALU_DEP_4)
	v_dual_add_f32 v95, v117, v95 :: v_dual_add_f32 v94, v116, v94
	v_mul_f32_e32 v116, 0xbf763a35, v186
	v_mul_f32_e32 v117, 0xbf7ee86f, v186
	;; [unrolled: 1-line block ×3, first 2 shown]
	v_dual_add_f32 v95, v119, v95 :: v_dual_add_f32 v94, v118, v94
	v_dual_mul_f32 v217, 0x3f7ee86f, v153 :: v_dual_mul_f32 v218, 0x3f7ee86f, v179
	v_mul_f32_e32 v220, 0xbf4c4adb, v179
	s_delay_alu instid0(VALU_DEP_3) | instskip(SKIP_3) | instid1(VALU_DEP_4)
	v_dual_add_f32 v95, v109, v95 :: v_dual_add_f32 v94, v108, v94
	v_mul_f32_e32 v108, 0x3dbcf732, v195
	v_mul_f32_e32 v222, 0xbe8c1d8e, v158
	;; [unrolled: 1-line block ×3, first 2 shown]
	v_dual_add_f32 v95, v111, v95 :: v_dual_add_f32 v94, v110, v94
	v_mul_f32_e32 v204, 0x3f7ee86f, v170
	v_mul_f32_e32 v206, 0xbe3c28d5, v177
	;; [unrolled: 1-line block ×3, first 2 shown]
	s_delay_alu instid0(VALU_DEP_4) | instskip(SKIP_2) | instid1(VALU_DEP_3)
	v_dual_add_f32 v95, v97, v95 :: v_dual_add_f32 v94, v96, v94
	v_mul_f32_e32 v221, 0xbf7ba420, v151
	v_mul_f32_e32 v223, 0x3f6eb680, v162
	v_dual_add_f32 v95, v99, v95 :: v_dual_add_f32 v94, v98, v94
	s_delay_alu instid0(VALU_DEP_1) | instskip(NEXT) | instid1(VALU_DEP_1)
	v_dual_add_f32 v95, v121, v95 :: v_dual_add_f32 v94, v120, v94
	v_dual_add_f32 v95, v123, v95 :: v_dual_add_f32 v94, v122, v94
	v_fmamk_f32 v122, v182, 0xbe8c1d8e, v116
	v_fma_f32 v116, 0xbe8c1d8e, v182, -v116
	v_fmamk_f32 v123, v182, 0x3dbcf732, v117
	s_delay_alu instid0(VALU_DEP_4) | instskip(SKIP_2) | instid1(VALU_DEP_4)
	v_dual_add_f32 v95, v113, v95 :: v_dual_add_f32 v94, v112, v94
	v_mul_f32_e32 v113, 0xbe3c28d5, v186
	v_fma_f32 v117, 0x3dbcf732, v182, -v117
	v_add_f32_e32 v123, v92, v123
	s_delay_alu instid0(VALU_DEP_4) | instskip(SKIP_3) | instid1(VALU_DEP_4)
	v_dual_add_f32 v95, v115, v95 :: v_dual_add_f32 v94, v114, v94
	v_mul_f32_e32 v115, 0xbf06c442, v186
	v_fma_f32 v118, 0xbf7ba420, v182, -v113
	v_fmac_f32_e32 v113, 0xbf7ba420, v182
	v_dual_add_f32 v95, v105, v95 :: v_dual_add_f32 v94, v104, v94
	s_delay_alu instid0(VALU_DEP_4) | instskip(SKIP_2) | instid1(VALU_DEP_4)
	v_fmamk_f32 v121, v182, 0xbf59a7d5, v115
	v_mul_f32_e32 v114, 0xbf4c4adb, v186
	v_fma_f32 v115, 0xbf59a7d5, v182, -v115
	v_dual_add_f32 v95, v107, v95 :: v_dual_add_f32 v94, v106, v94
	s_delay_alu instid0(VALU_DEP_4) | instskip(NEXT) | instid1(VALU_DEP_4)
	v_dual_mul_f32 v106, 0xbf59a7d5, v195 :: v_dual_add_f32 v121, v92, v121
	v_fma_f32 v119, 0xbf1a4643, v182, -v114
	s_delay_alu instid0(VALU_DEP_3) | instskip(NEXT) | instid1(VALU_DEP_4)
	v_dual_mul_f32 v112, 0xbf65296c, v186 :: v_dual_add_f32 v95, v101, v95
	v_add_f32_e32 v94, v100, v94
	v_mul_f32_e32 v100, 0xbe3c28d5, v187
	s_delay_alu instid0(VALU_DEP_4) | instskip(NEXT) | instid1(VALU_DEP_4)
	v_add_f32_e32 v119, v92, v119
	v_fma_f32 v120, 0x3ee437d1, v182, -v112
	v_mul_f32_e32 v99, 0x3f6eb680, v182
	v_dual_add_f32 v97, v103, v95 :: v_dual_add_f32 v98, v102, v94
	s_delay_alu instid0(VALU_DEP_3) | instskip(NEXT) | instid1(VALU_DEP_3)
	v_dual_fmamk_f32 v101, v195, 0xbf7ba420, v100 :: v_dual_add_f32 v120, v92, v120
	v_dual_mul_f32 v96, 0xbeb8f4ab, v187 :: v_dual_add_f32 v99, v99, v198
	v_mul_f32_e32 v95, 0x3f3d2fb0, v182
	v_fma_f32 v100, 0xbf7ba420, v195, -v100
	s_delay_alu instid0(VALU_DEP_4) | instskip(NEXT) | instid1(VALU_DEP_4)
	v_dual_mul_f32 v104, 0xbf65296c, v187 :: v_dual_add_f32 v101, v93, v101
	v_sub_f32_e32 v96, v199, v96
	s_delay_alu instid0(VALU_DEP_4) | instskip(NEXT) | instid1(VALU_DEP_3)
	v_dual_mul_f32 v94, 0xbf2c7751, v187 :: v_dual_add_f32 v95, v95, v200
	v_fmamk_f32 v105, v195, 0x3ee437d1, v104
	v_fma_f32 v104, 0x3ee437d1, v195, -v104
	s_delay_alu instid0(VALU_DEP_3)
	v_dual_mul_f32 v107, 0xbe8c1d8e, v195 :: v_dual_sub_f32 v94, v201, v94
	v_fmac_f32_e32 v114, 0xbf1a4643, v182
	v_fmac_f32_e32 v112, 0x3ee437d1, v182
	v_add_f32_e32 v182, v93, v100
	v_dual_mul_f32 v102, 0xbf4c4adb, v187 :: v_dual_add_f32 v105, v93, v105
	v_add_f32_e32 v118, v92, v118
	v_dual_add_f32 v198, v93, v94 :: v_dual_add_f32 v199, v92, v95
	s_delay_alu instid0(VALU_DEP_3)
	v_fmamk_f32 v103, v195, 0xbf1a4643, v102
	v_fma_f32 v102, 0xbf1a4643, v195, -v102
	v_fmamk_f32 v109, v187, 0x3f06c442, v106
	v_fmamk_f32 v110, v187, 0x3f763a35, v107
	v_dual_fmac_f32 v107, 0xbf763a35, v187 :: v_dual_add_f32 v114, v92, v114
	v_add_f32_e32 v103, v93, v103
	s_delay_alu instid0(VALU_DEP_3) | instskip(SKIP_4) | instid1(VALU_DEP_3)
	v_dual_fmamk_f32 v111, v187, 0x3f7ee86f, v108 :: v_dual_add_f32 v110, v93, v110
	v_add_f32_e32 v186, v93, v102
	v_dual_fmac_f32 v108, 0xbf7ee86f, v187 :: v_dual_add_f32 v109, v93, v109
	v_add_f32_e32 v94, v92, v116
	v_dual_fmac_f32 v106, 0xbf06c442, v187 :: v_dual_add_f32 v113, v92, v113
	v_dual_add_f32 v122, v92, v122 :: v_dual_add_f32 v95, v93, v108
	v_add_f32_e32 v111, v93, v111
	v_add_f32_e32 v187, v93, v104
	s_delay_alu instid0(VALU_DEP_4)
	v_dual_add_f32 v195, v92, v112 :: v_dual_add_f32 v200, v93, v106
	v_add_f32_e32 v100, v93, v96
	v_add_f32_e32 v202, v93, v107
	v_dual_add_f32 v89, v89, v97 :: v_dual_add_f32 v88, v88, v98
	v_mul_f32_e32 v98, 0x3ee437d1, v140
	v_mul_f32_e32 v93, 0xbf65296c, v141
	v_add_f32_e32 v99, v92, v99
	v_dual_add_f32 v96, v92, v117 :: v_dual_mul_f32 v97, 0x3f3d2fb0, v138
	s_delay_alu instid0(VALU_DEP_3) | instskip(SKIP_1) | instid1(VALU_DEP_3)
	v_dual_add_f32 v98, v98, v183 :: v_dual_sub_f32 v93, v184, v93
	v_add_f32_e32 v201, v92, v115
	v_dual_mul_f32 v92, 0xbf2c7751, v139 :: v_dual_add_f32 v97, v97, v180
	v_mul_f32_e32 v180, 0x3f2c7751, v145
	v_mul_f32_e32 v116, 0x3e3c28d5, v141
	s_delay_alu instid0(VALU_DEP_3) | instskip(NEXT) | instid1(VALU_DEP_4)
	v_dual_mul_f32 v117, 0x3f763a35, v143 :: v_dual_sub_f32 v92, v181, v92
	v_add_f32_e32 v97, v97, v99
	v_mul_f32_e32 v115, 0xbf4c4adb, v139
	v_mul_f32_e32 v181, 0xbf4c4adb, v157
	s_delay_alu instid0(VALU_DEP_4) | instskip(NEXT) | instid1(VALU_DEP_4)
	v_dual_mul_f32 v183, 0x3e3c28d5, v161 :: v_dual_add_f32 v92, v92, v100
	v_dual_add_f32 v97, v98, v97 :: v_dual_mul_f32 v98, 0x3dbcf732, v142
	v_mul_f32_e32 v184, 0xbf7ee86f, v149
	v_mul_f32_e32 v112, 0xbf06c442, v143
	s_delay_alu instid0(VALU_DEP_4) | instskip(NEXT) | instid1(VALU_DEP_4)
	v_dual_add_f32 v92, v93, v92 :: v_dual_mul_f32 v93, 0xbf7ee86f, v143
	v_dual_add_f32 v98, v98, v185 :: v_dual_mul_f32 v185, 0x3f763a35, v166
	v_mul_f32_e32 v108, 0xbeb8f4ab, v141
	v_mul_f32_e32 v107, 0x3f763a35, v139
	s_delay_alu instid0(VALU_DEP_4) | instskip(NEXT) | instid1(VALU_DEP_4)
	v_sub_f32_e32 v93, v188, v93
	v_dual_add_f32 v97, v98, v97 :: v_dual_mul_f32 v98, 0xbe8c1d8e, v144
	v_mul_f32_e32 v188, 0x3f2c7751, v170
	v_fmamk_f32 v100, v158, 0x3f6eb680, v108
	s_delay_alu instid0(VALU_DEP_4) | instskip(NEXT) | instid1(VALU_DEP_4)
	v_dual_add_f32 v92, v93, v92 :: v_dual_mul_f32 v93, 0xbf763a35, v145
	v_dual_add_f32 v98, v98, v189 :: v_dual_mul_f32 v189, 0xbeb8f4ab, v175
	v_mul_f32_e32 v104, 0xbf06c442, v141
	v_mul_f32_e32 v205, 0xbf2c7751, v175
	s_delay_alu instid0(VALU_DEP_4) | instskip(NEXT) | instid1(VALU_DEP_4)
	v_sub_f32_e32 v93, v190, v93
	v_dual_add_f32 v97, v98, v97 :: v_dual_mul_f32 v98, 0xbf1a4643, v146
	v_mul_f32_e32 v190, 0xbf7ee86f, v177
	v_mul_f32_e32 v106, 0xbf4c4adb, v145
	s_delay_alu instid0(VALU_DEP_4) | instskip(NEXT) | instid1(VALU_DEP_4)
	v_dual_add_f32 v92, v93, v92 :: v_dual_mul_f32 v93, 0xbf4c4adb, v147
	v_dual_add_f32 v98, v98, v191 :: v_dual_mul_f32 v191, 0xbf06c442, v153
	v_fma_f32 v108, 0x3f6eb680, v158, -v108
	s_delay_alu instid0(VALU_DEP_3) | instskip(NEXT) | instid1(VALU_DEP_1)
	v_dual_sub_f32 v93, v192, v93 :: v_dual_mul_f32 v192, 0xbf06c442, v179
	v_dual_add_f32 v92, v93, v92 :: v_dual_mul_f32 v93, 0xbf06c442, v149
	s_delay_alu instid0(VALU_DEP_1) | instskip(SKIP_1) | instid1(VALU_DEP_2)
	v_sub_f32_e32 v93, v194, v93
	v_mul_f32_e32 v194, 0x3f763a35, v157
	v_dual_add_f32 v92, v93, v92 :: v_dual_add_f32 v93, v98, v97
	v_mul_f32_e32 v97, 0xbf59a7d5, v148
	s_delay_alu instid0(VALU_DEP_1) | instskip(SKIP_1) | instid1(VALU_DEP_2)
	v_add_f32_e32 v97, v97, v193
	v_mul_f32_e32 v193, 0x3f7ee86f, v145
	v_add_f32_e32 v97, v97, v93
	v_mul_f32_e32 v93, 0xbf7ba420, v150
	s_delay_alu instid0(VALU_DEP_1) | instskip(NEXT) | instid1(VALU_DEP_1)
	v_dual_mul_f32 v98, 0xbe3c28d5, v153 :: v_dual_add_f32 v99, v93, v196
	v_sub_f32_e32 v98, v197, v98
	v_mul_f32_e32 v196, 0xbeb8f4ab, v161
	v_mul_f32_e32 v197, 0xbe3c28d5, v149
	s_delay_alu instid0(VALU_DEP_3) | instskip(SKIP_1) | instid1(VALU_DEP_1)
	v_dual_add_f32 v93, v98, v92 :: v_dual_add_f32 v92, v99, v97
	v_fmamk_f32 v97, v151, 0xbf1a4643, v115
	v_dual_fmamk_f32 v98, v158, 0xbf7ba420, v116 :: v_dual_add_f32 v97, v97, v105
	v_mul_f32_e32 v105, 0x3f2c7751, v143
	s_delay_alu instid0(VALU_DEP_2) | instskip(SKIP_1) | instid1(VALU_DEP_1)
	v_add_f32_e32 v97, v98, v97
	v_fmamk_f32 v98, v162, 0xbe8c1d8e, v117
	v_dual_add_f32 v97, v98, v97 :: v_dual_fmamk_f32 v98, v167, 0x3f3d2fb0, v180
	s_delay_alu instid0(VALU_DEP_1) | instskip(SKIP_1) | instid1(VALU_DEP_1)
	v_add_f32_e32 v97, v98, v97
	v_fma_f32 v98, 0xbf1a4643, v138, -v181
	v_add_f32_e32 v98, v98, v120
	v_mul_f32_e32 v120, 0xbeb8f4ab, v147
	s_delay_alu instid0(VALU_DEP_1) | instskip(NEXT) | instid1(VALU_DEP_1)
	v_fmamk_f32 v99, v172, 0x3f6eb680, v120
	v_add_f32_e32 v97, v99, v97
	v_fma_f32 v99, 0xbf7ba420, v140, -v183
	s_delay_alu instid0(VALU_DEP_1) | instskip(NEXT) | instid1(VALU_DEP_1)
	v_dual_add_f32 v98, v99, v98 :: v_dual_fmamk_f32 v99, v176, 0x3dbcf732, v184
	v_add_f32_e32 v97, v99, v97
	v_fma_f32 v99, 0xbe8c1d8e, v142, -v185
	v_fmac_f32_e32 v185, 0xbe8c1d8e, v142
	s_delay_alu instid0(VALU_DEP_2) | instskip(SKIP_2) | instid1(VALU_DEP_2)
	v_add_f32_e32 v98, v99, v98
	v_fma_f32 v99, 0x3f3d2fb0, v144, -v188
	v_fmac_f32_e32 v188, 0x3f3d2fb0, v144
	v_add_f32_e32 v98, v99, v98
	v_fma_f32 v99, 0x3f6eb680, v146, -v189
	v_fmac_f32_e32 v189, 0x3f6eb680, v146
	v_mul_f32_e32 v179, 0x3f2c7751, v179
	v_mul_f32_e32 v226, 0x3f3d2fb0, v178
	s_delay_alu instid0(VALU_DEP_4) | instskip(SKIP_1) | instid1(VALU_DEP_1)
	v_add_f32_e32 v98, v99, v98
	v_fma_f32 v99, 0x3dbcf732, v148, -v190
	v_dual_add_f32 v99, v99, v98 :: v_dual_fmamk_f32 v98, v178, 0xbf59a7d5, v191
	s_delay_alu instid0(VALU_DEP_1) | instskip(SKIP_1) | instid1(VALU_DEP_1)
	v_add_f32_e32 v98, v98, v97
	v_fma_f32 v97, 0xbf59a7d5, v150, -v192
	v_dual_fmac_f32 v192, 0xbf59a7d5, v150 :: v_dual_add_f32 v97, v97, v99
	v_fmamk_f32 v99, v151, 0xbe8c1d8e, v107
	s_delay_alu instid0(VALU_DEP_1) | instskip(SKIP_1) | instid1(VALU_DEP_2)
	v_add_f32_e32 v99, v99, v103
	v_mul_f32_e32 v103, 0x3eb8f4ab, v139
	v_dual_add_f32 v99, v100, v99 :: v_dual_fmamk_f32 v100, v162, 0xbf59a7d5, v112
	s_delay_alu instid0(VALU_DEP_1) | instskip(SKIP_1) | instid1(VALU_DEP_1)
	v_dual_fmac_f32 v190, 0x3dbcf732, v148 :: v_dual_add_f32 v99, v100, v99
	v_fmamk_f32 v100, v167, 0x3dbcf732, v193
	v_add_f32_e32 v99, v100, v99
	v_fma_f32 v100, 0xbe8c1d8e, v138, -v194
	v_fmac_f32_e32 v194, 0xbe8c1d8e, v138
	s_delay_alu instid0(VALU_DEP_2) | instskip(SKIP_1) | instid1(VALU_DEP_1)
	v_add_f32_e32 v100, v100, v119
	v_mul_f32_e32 v119, 0xbf2c7751, v147
	v_fmamk_f32 v102, v172, 0x3f3d2fb0, v119
	s_delay_alu instid0(VALU_DEP_1) | instskip(SKIP_2) | instid1(VALU_DEP_2)
	v_add_f32_e32 v99, v102, v99
	v_fma_f32 v102, 0x3f6eb680, v140, -v196
	v_fmac_f32_e32 v196, 0x3f6eb680, v140
	v_add_f32_e32 v100, v102, v100
	v_fmamk_f32 v102, v176, 0xbf7ba420, v197
	v_fmac_f32_e32 v181, 0xbf1a4643, v138
	s_delay_alu instid0(VALU_DEP_2) | instskip(SKIP_1) | instid1(VALU_DEP_1)
	v_add_f32_e32 v99, v102, v99
	v_fma_f32 v102, 0xbf59a7d5, v142, -v203
	v_dual_fmac_f32 v203, 0xbf59a7d5, v142 :: v_dual_add_f32 v100, v102, v100
	v_fma_f32 v102, 0x3dbcf732, v144, -v204
	v_fmac_f32_e32 v204, 0x3dbcf732, v144
	v_fmac_f32_e32 v183, 0xbf7ba420, v140
	s_delay_alu instid0(VALU_DEP_3) | instskip(SKIP_2) | instid1(VALU_DEP_2)
	v_add_f32_e32 v100, v102, v100
	v_fma_f32 v102, 0x3f3d2fb0, v146, -v205
	v_fma_f32 v107, 0xbe8c1d8e, v151, -v107
	v_add_f32_e32 v100, v102, v100
	v_fma_f32 v102, 0xbf7ba420, v148, -v206
	s_delay_alu instid0(VALU_DEP_3) | instskip(SKIP_1) | instid1(VALU_DEP_3)
	v_dual_add_f32 v107, v107, v186 :: v_dual_fmac_f32 v206, 0xbf7ba420, v148
	v_mul_f32_e32 v186, 0x3f3d2fb0, v158
	v_add_f32_e32 v102, v102, v100
	s_delay_alu instid0(VALU_DEP_3) | instskip(SKIP_1) | instid1(VALU_DEP_2)
	v_dual_fmamk_f32 v100, v178, 0x3ee437d1, v207 :: v_dual_add_f32 v107, v108, v107
	v_fma_f32 v108, 0xbf59a7d5, v162, -v112
	v_add_f32_e32 v100, v100, v99
	v_fma_f32 v99, 0x3ee437d1, v150, -v208
	s_delay_alu instid0(VALU_DEP_3) | instskip(SKIP_1) | instid1(VALU_DEP_3)
	v_dual_add_f32 v107, v108, v107 :: v_dual_add_f32 v108, v194, v114
	v_fmac_f32_e32 v208, 0x3ee437d1, v150
	v_dual_mul_f32 v194, 0xbf7ba420, v167 :: v_dual_add_f32 v99, v99, v102
	v_fmamk_f32 v102, v151, 0x3f6eb680, v103
	s_delay_alu instid0(VALU_DEP_4) | instskip(SKIP_2) | instid1(VALU_DEP_4)
	v_add_f32_e32 v108, v196, v108
	v_mul_f32_e32 v196, 0x3dbcf732, v172
	v_fma_f32 v114, 0xbf7ba420, v158, -v116
	v_add_f32_e32 v101, v102, v101
	v_fmamk_f32 v102, v158, 0xbf59a7d5, v104
	v_fma_f32 v104, 0xbf59a7d5, v158, -v104
	v_dual_add_f32 v108, v203, v108 :: v_dual_mul_f32 v203, 0x3f2c7751, v161
	s_delay_alu instid0(VALU_DEP_3) | instskip(SKIP_1) | instid1(VALU_DEP_3)
	v_add_f32_e32 v101, v102, v101
	v_fmamk_f32 v102, v162, 0x3f3d2fb0, v105
	v_add_f32_e32 v108, v204, v108
	s_delay_alu instid0(VALU_DEP_2) | instskip(SKIP_1) | instid1(VALU_DEP_1)
	v_dual_mul_f32 v204, 0xbf65296c, v166 :: v_dual_add_f32 v101, v102, v101
	v_fmamk_f32 v102, v167, 0xbf1a4643, v106
	v_add_f32_e32 v101, v102, v101
	v_fma_f32 v102, 0x3f6eb680, v138, -v209
	s_delay_alu instid0(VALU_DEP_1) | instskip(SKIP_2) | instid1(VALU_DEP_2)
	v_add_f32_e32 v102, v102, v118
	v_mul_f32_e32 v118, 0x3f65296c, v147
	v_fmac_f32_e32 v205, 0x3f3d2fb0, v146
	v_fmamk_f32 v210, v172, 0x3ee437d1, v118
	s_delay_alu instid0(VALU_DEP_2) | instskip(NEXT) | instid1(VALU_DEP_2)
	v_dual_add_f32 v108, v205, v108 :: v_dual_mul_f32 v205, 0xbe3c28d5, v170
	v_add_f32_e32 v101, v210, v101
	v_mul_f32_e32 v210, 0xbf06c442, v161
	s_delay_alu instid0(VALU_DEP_1) | instskip(NEXT) | instid1(VALU_DEP_1)
	v_fma_f32 v211, 0xbf59a7d5, v140, -v210
	v_add_f32_e32 v102, v211, v102
	v_mul_f32_e32 v211, 0x3f2c7751, v166
	v_fma_f32 v103, 0x3f6eb680, v151, -v103
	s_delay_alu instid0(VALU_DEP_2) | instskip(NEXT) | instid1(VALU_DEP_2)
	v_fma_f32 v212, 0x3f3d2fb0, v142, -v211
	v_add_f32_e32 v103, v103, v182
	v_mul_f32_e32 v182, 0x3dbcf732, v158
	s_delay_alu instid0(VALU_DEP_3) | instskip(NEXT) | instid1(VALU_DEP_3)
	v_add_f32_e32 v102, v212, v102
	v_add_f32_e32 v103, v104, v103
	v_fma_f32 v104, 0x3f3d2fb0, v162, -v105
	v_mul_f32_e32 v212, 0xbf763a35, v149
	v_fma_f32 v105, 0x3ee437d1, v172, -v118
	s_delay_alu instid0(VALU_DEP_3) | instskip(NEXT) | instid1(VALU_DEP_3)
	v_dual_fmac_f32 v210, 0xbf59a7d5, v140 :: v_dual_add_f32 v103, v104, v103
	v_fmamk_f32 v213, v176, 0xbe8c1d8e, v212
	s_delay_alu instid0(VALU_DEP_1) | instskip(SKIP_4) | instid1(VALU_DEP_4)
	v_add_f32_e32 v101, v213, v101
	v_mul_f32_e32 v213, 0xbf4c4adb, v170
	v_fma_f32 v104, 0xbf1a4643, v167, -v106
	v_fmamk_f32 v106, v141, 0x3f7ee86f, v182
	v_mul_f32_e32 v118, 0x3ee437d1, v151
	v_fma_f32 v214, 0xbf1a4643, v144, -v213
	s_delay_alu instid0(VALU_DEP_1) | instskip(SKIP_2) | instid1(VALU_DEP_3)
	v_dual_add_f32 v103, v104, v103 :: v_dual_add_f32 v102, v214, v102
	v_mul_f32_e32 v214, 0x3f65296c, v175
	v_fmac_f32_e32 v209, 0x3f6eb680, v138
	v_add_f32_e32 v103, v105, v103
	v_fma_f32 v105, 0xbe8c1d8e, v176, -v212
	v_mul_f32_e32 v212, 0xbf7ee86f, v161
	v_fma_f32 v215, 0x3ee437d1, v146, -v214
	s_delay_alu instid0(VALU_DEP_1) | instskip(NEXT) | instid1(VALU_DEP_1)
	v_dual_add_f32 v102, v215, v102 :: v_dual_mul_f32 v215, 0xbf763a35, v177
	v_fma_f32 v216, 0xbe8c1d8e, v148, -v215
	s_delay_alu instid0(VALU_DEP_1) | instskip(SKIP_3) | instid1(VALU_DEP_3)
	v_add_f32_e32 v216, v216, v102
	v_fmamk_f32 v102, v178, 0x3dbcf732, v217
	v_fmac_f32_e32 v215, 0xbe8c1d8e, v148
	v_fmac_f32_e32 v214, 0x3ee437d1, v146
	v_add_f32_e32 v102, v102, v101
	v_dual_add_f32 v104, v209, v113 :: v_dual_fmac_f32 v211, 0x3f3d2fb0, v142
	v_fma_f32 v101, 0x3dbcf732, v150, -v218
	v_fmac_f32_e32 v218, 0x3dbcf732, v150
	s_delay_alu instid0(VALU_DEP_3) | instskip(SKIP_1) | instid1(VALU_DEP_4)
	v_dual_mul_f32 v209, 0xbf1a4643, v162 :: v_dual_add_f32 v104, v210, v104
	v_add_f32_e32 v103, v105, v103
	v_dual_add_f32 v101, v101, v216 :: v_dual_mul_f32 v216, 0xbe3c28d5, v175
	s_delay_alu instid0(VALU_DEP_3) | instskip(SKIP_1) | instid1(VALU_DEP_1)
	v_add_f32_e32 v104, v211, v104
	v_fmac_f32_e32 v213, 0xbf1a4643, v144
	v_dual_mul_f32 v211, 0x3f65296c, v157 :: v_dual_add_f32 v104, v213, v104
	s_delay_alu instid0(VALU_DEP_1) | instskip(NEXT) | instid1(VALU_DEP_1)
	v_dual_mul_f32 v213, 0x3f4c4adb, v166 :: v_dual_add_f32 v104, v214, v104
	v_add_f32_e32 v105, v215, v104
	v_fma_f32 v104, 0x3dbcf732, v178, -v217
	v_mul_f32_e32 v217, 0x3f2c7751, v177
	v_mul_f32_e32 v214, 0x3f3d2fb0, v176
	v_mul_f32_e32 v215, 0xbeb8f4ab, v170
	v_mul_f32_e32 v170, 0xbf65296c, v170
	v_dual_add_f32 v104, v104, v103 :: v_dual_add_f32 v103, v218, v105
	v_fmamk_f32 v105, v139, 0xbf65296c, v118
	v_mul_f32_e32 v218, 0xbe8c1d8e, v178
	s_delay_alu instid0(VALU_DEP_2) | instskip(NEXT) | instid1(VALU_DEP_1)
	v_dual_mul_f32 v224, 0x3ee437d1, v167 :: v_dual_add_f32 v105, v105, v109
	v_dual_add_f32 v105, v106, v105 :: v_dual_fmamk_f32 v106, v143, 0xbf4c4adb, v209
	s_delay_alu instid0(VALU_DEP_1) | instskip(SKIP_2) | instid1(VALU_DEP_2)
	v_dual_fmac_f32 v118, 0x3f65296c, v139 :: v_dual_add_f32 v105, v106, v105
	v_mul_f32_e32 v210, 0x3f6eb680, v167
	v_fmac_f32_e32 v182, 0xbf7ee86f, v141
	v_fmamk_f32 v106, v145, 0x3eb8f4ab, v210
	s_delay_alu instid0(VALU_DEP_1) | instskip(SKIP_1) | instid1(VALU_DEP_1)
	v_add_f32_e32 v105, v106, v105
	v_fmamk_f32 v106, v138, 0x3ee437d1, v211
	v_dual_add_f32 v106, v106, v121 :: v_dual_mul_f32 v121, 0xbf7ba420, v172
	s_delay_alu instid0(VALU_DEP_1) | instskip(NEXT) | instid1(VALU_DEP_1)
	v_fmamk_f32 v109, v147, 0x3e3c28d5, v121
	v_add_f32_e32 v105, v109, v105
	v_fmamk_f32 v109, v140, 0x3dbcf732, v212
	s_delay_alu instid0(VALU_DEP_1) | instskip(NEXT) | instid1(VALU_DEP_1)
	v_dual_add_f32 v106, v109, v106 :: v_dual_fmamk_f32 v109, v142, 0xbf1a4643, v213
	v_add_f32_e32 v106, v109, v106
	v_fmamk_f32 v109, v149, 0xbf2c7751, v214
	s_delay_alu instid0(VALU_DEP_1) | instskip(SKIP_1) | instid1(VALU_DEP_1)
	v_add_f32_e32 v105, v109, v105
	v_fmamk_f32 v109, v144, 0x3f6eb680, v215
	v_dual_add_f32 v106, v109, v106 :: v_dual_fmamk_f32 v109, v146, 0xbf7ba420, v216
	s_delay_alu instid0(VALU_DEP_1) | instskip(NEXT) | instid1(VALU_DEP_1)
	v_dual_add_f32 v106, v109, v106 :: v_dual_fmamk_f32 v109, v148, 0x3f3d2fb0, v217
	v_add_f32_e32 v109, v109, v106
	v_fmamk_f32 v106, v153, 0x3f763a35, v218
	s_delay_alu instid0(VALU_DEP_1) | instskip(SKIP_2) | instid1(VALU_DEP_2)
	v_add_f32_e32 v106, v106, v105
	v_fmamk_f32 v105, v150, 0xbe8c1d8e, v219
	v_fmac_f32_e32 v209, 0x3f4c4adb, v143
	v_add_f32_e32 v105, v105, v109
	v_fma_f32 v109, 0x3dbcf732, v167, -v193
	v_mul_f32_e32 v193, 0x3ee437d1, v162
	s_delay_alu instid0(VALU_DEP_2) | instskip(SKIP_1) | instid1(VALU_DEP_1)
	v_add_f32_e32 v107, v109, v107
	v_fma_f32 v109, 0x3f3d2fb0, v172, -v119
	v_add_f32_e32 v107, v109, v107
	v_fma_f32 v109, 0xbf7ba420, v176, -v197
	v_mul_f32_e32 v197, 0x3f06c442, v157
	v_mul_f32_e32 v119, 0xbf59a7d5, v151
	;; [unrolled: 1-line block ×3, first 2 shown]
	s_delay_alu instid0(VALU_DEP_4) | instskip(SKIP_3) | instid1(VALU_DEP_2)
	v_add_f32_e32 v107, v109, v107
	v_add_f32_e32 v109, v206, v108
	v_fma_f32 v108, 0x3ee437d1, v178, -v207
	v_mul_f32_e32 v206, 0x3f7ee86f, v175
	v_add_f32_e32 v108, v108, v107
	s_delay_alu instid0(VALU_DEP_4) | instskip(SKIP_2) | instid1(VALU_DEP_2)
	v_add_f32_e32 v107, v208, v109
	v_fmamk_f32 v109, v139, 0xbf06c442, v119
	v_mul_f32_e32 v208, 0xbf1a4643, v178
	v_add_f32_e32 v109, v109, v110
	v_fmamk_f32 v110, v141, 0xbf2c7751, v186
	s_delay_alu instid0(VALU_DEP_1) | instskip(NEXT) | instid1(VALU_DEP_1)
	v_dual_add_f32 v109, v110, v109 :: v_dual_fmamk_f32 v110, v143, 0x3f65296c, v193
	v_dual_add_f32 v109, v110, v109 :: v_dual_fmamk_f32 v110, v145, 0x3e3c28d5, v194
	s_delay_alu instid0(VALU_DEP_1) | instskip(NEXT) | instid1(VALU_DEP_1)
	v_dual_add_f32 v109, v110, v109 :: v_dual_fmamk_f32 v110, v147, 0xbf7ee86f, v196
	v_add_f32_e32 v109, v110, v109
	v_fmamk_f32 v110, v138, 0xbf59a7d5, v197
	v_fmac_f32_e32 v119, 0x3f06c442, v139
	v_fmac_f32_e32 v214, 0x3f2c7751, v149
	s_delay_alu instid0(VALU_DEP_3) | instskip(NEXT) | instid1(VALU_DEP_3)
	v_add_f32_e32 v110, v110, v122
	v_dual_add_f32 v119, v119, v202 :: v_dual_mul_f32 v122, 0x3f6eb680, v176
	s_delay_alu instid0(VALU_DEP_1) | instskip(SKIP_1) | instid1(VALU_DEP_2)
	v_fmamk_f32 v112, v149, 0x3eb8f4ab, v122
	v_fmac_f32_e32 v122, 0xbeb8f4ab, v149
	v_add_f32_e32 v109, v112, v109
	v_fmamk_f32 v112, v140, 0x3f3d2fb0, v203
	s_delay_alu instid0(VALU_DEP_1) | instskip(SKIP_4) | instid1(VALU_DEP_4)
	v_add_f32_e32 v110, v112, v110
	v_fmamk_f32 v112, v142, 0x3ee437d1, v204
	v_fmac_f32_e32 v193, 0xbf65296c, v143
	v_fmac_f32_e32 v186, 0x3f2c7751, v141
	v_fmac_f32_e32 v218, 0xbf763a35, v153
	v_add_f32_e32 v110, v112, v110
	s_delay_alu instid0(VALU_DEP_3) | instskip(NEXT) | instid1(VALU_DEP_1)
	v_dual_fmamk_f32 v112, v144, 0xbf7ba420, v205 :: v_dual_add_f32 v119, v186, v119
	v_add_f32_e32 v110, v112, v110
	v_fmamk_f32 v112, v146, 0x3dbcf732, v206
	s_delay_alu instid0(VALU_DEP_1) | instskip(SKIP_1) | instid1(VALU_DEP_2)
	v_dual_add_f32 v110, v112, v110 :: v_dual_mul_f32 v207, 0xbeb8f4ab, v177
	v_mul_f32_e32 v177, 0x3f4c4adb, v177
	v_fmamk_f32 v112, v148, 0x3f6eb680, v207
	s_delay_alu instid0(VALU_DEP_1) | instskip(SKIP_1) | instid1(VALU_DEP_1)
	v_add_f32_e32 v112, v112, v110
	v_fmamk_f32 v110, v153, 0x3f4c4adb, v208
	v_add_f32_e32 v110, v110, v109
	v_fmamk_f32 v109, v150, 0xbf1a4643, v220
	s_delay_alu instid0(VALU_DEP_1) | instskip(SKIP_2) | instid1(VALU_DEP_2)
	v_dual_fmac_f32 v208, 0xbf4c4adb, v153 :: v_dual_add_f32 v109, v109, v112
	v_fmamk_f32 v112, v139, 0x3e3c28d5, v221
	v_fmac_f32_e32 v221, 0xbe3c28d5, v139
	v_dual_add_f32 v111, v112, v111 :: v_dual_fmamk_f32 v112, v141, 0xbf763a35, v222
	s_delay_alu instid0(VALU_DEP_2) | instskip(NEXT) | instid1(VALU_DEP_2)
	v_add_f32_e32 v95, v221, v95
	v_dual_add_f32 v111, v112, v111 :: v_dual_fmamk_f32 v112, v143, 0xbeb8f4ab, v223
	s_delay_alu instid0(VALU_DEP_1) | instskip(NEXT) | instid1(VALU_DEP_1)
	v_dual_add_f32 v111, v112, v111 :: v_dual_fmamk_f32 v112, v145, 0x3f65296c, v224
	v_dual_add_f32 v111, v112, v111 :: v_dual_fmamk_f32 v112, v147, 0x3f06c442, v225
	s_delay_alu instid0(VALU_DEP_1) | instskip(NEXT) | instid1(VALU_DEP_1)
	v_dual_add_f32 v111, v112, v111 :: v_dual_fmamk_f32 v112, v138, 0xbf7ba420, v157
	v_dual_add_f32 v112, v112, v123 :: v_dual_mul_f32 v123, 0x3f763a35, v161
	v_mul_f32_e32 v161, 0x3eb8f4ab, v166
	v_mul_f32_e32 v166, 0xbf1a4643, v176
	s_delay_alu instid0(VALU_DEP_3) | instskip(NEXT) | instid1(VALU_DEP_1)
	v_fmamk_f32 v113, v140, 0xbe8c1d8e, v123
	v_dual_add_f32 v112, v113, v112 :: v_dual_fmamk_f32 v113, v142, 0x3f6eb680, v161
	s_delay_alu instid0(VALU_DEP_1) | instskip(NEXT) | instid1(VALU_DEP_4)
	v_add_f32_e32 v112, v113, v112
	v_fmamk_f32 v113, v149, 0xbf4c4adb, v166
	s_delay_alu instid0(VALU_DEP_1) | instskip(SKIP_1) | instid1(VALU_DEP_1)
	v_add_f32_e32 v111, v113, v111
	v_fmamk_f32 v113, v144, 0x3ee437d1, v170
	v_dual_add_f32 v112, v113, v112 :: v_dual_mul_f32 v175, 0xbf06c442, v175
	s_delay_alu instid0(VALU_DEP_1) | instskip(NEXT) | instid1(VALU_DEP_1)
	v_fmamk_f32 v113, v146, 0xbf59a7d5, v175
	v_dual_add_f32 v112, v113, v112 :: v_dual_fmamk_f32 v113, v148, 0xbf1a4643, v177
	s_delay_alu instid0(VALU_DEP_1) | instskip(SKIP_1) | instid1(VALU_DEP_1)
	v_dual_fmac_f32 v166, 0x3f4c4adb, v149 :: v_dual_add_f32 v113, v113, v112
	v_fmamk_f32 v112, v153, 0xbf2c7751, v226
	v_dual_add_f32 v112, v112, v111 :: v_dual_fmamk_f32 v111, v150, 0x3f3d2fb0, v179
	v_fmac_f32_e32 v225, 0xbf06c442, v147
	s_delay_alu instid0(VALU_DEP_2) | instskip(SKIP_2) | instid1(VALU_DEP_2)
	v_add_f32_e32 v111, v111, v113
	v_fma_f32 v113, 0xbf1a4643, v151, -v115
	v_fma_f32 v115, 0xbf59a7d5, v178, -v191
	v_add_f32_e32 v113, v113, v187
	s_delay_alu instid0(VALU_DEP_1) | instskip(SKIP_1) | instid1(VALU_DEP_1)
	v_add_f32_e32 v113, v114, v113
	v_fma_f32 v114, 0xbe8c1d8e, v162, -v117
	v_add_f32_e32 v113, v114, v113
	v_fma_f32 v114, 0x3f3d2fb0, v167, -v180
	s_delay_alu instid0(VALU_DEP_1) | instskip(SKIP_3) | instid1(VALU_DEP_2)
	v_add_f32_e32 v113, v114, v113
	v_fma_f32 v114, 0x3f6eb680, v172, -v120
	v_mul_f32_e32 v120, 0xbf1a4643, v140
	v_mul_f32_e32 v117, 0xbf4c4adb, v141
	v_dual_add_f32 v113, v114, v113 :: v_dual_add_f32 v120, v120, v155
	v_fma_f32 v114, 0x3dbcf732, v176, -v184
	s_delay_alu instid0(VALU_DEP_3) | instskip(NEXT) | instid1(VALU_DEP_2)
	v_sub_f32_e32 v117, v156, v117
	v_dual_add_f32 v113, v114, v113 :: v_dual_add_f32 v114, v181, v195
	s_delay_alu instid0(VALU_DEP_1) | instskip(NEXT) | instid1(VALU_DEP_1)
	v_add_f32_e32 v114, v183, v114
	v_add_f32_e32 v114, v185, v114
	s_delay_alu instid0(VALU_DEP_1) | instskip(NEXT) | instid1(VALU_DEP_1)
	v_add_f32_e32 v114, v188, v114
	v_add_f32_e32 v114, v189, v114
	s_delay_alu instid0(VALU_DEP_1) | instskip(NEXT) | instid1(VALU_DEP_1)
	v_add_f32_e32 v116, v190, v114
	v_dual_add_f32 v114, v115, v113 :: v_dual_add_f32 v113, v192, v116
	v_mul_f32_e32 v116, 0x3dbcf732, v138
	s_delay_alu instid0(VALU_DEP_1) | instskip(NEXT) | instid1(VALU_DEP_1)
	v_add_f32_e32 v116, v116, v152
	v_add_f32_e32 v116, v116, v199
	s_delay_alu instid0(VALU_DEP_1) | instskip(NEXT) | instid1(VALU_DEP_1)
	v_dual_mul_f32 v115, 0xbf7ee86f, v139 :: v_dual_add_f32 v116, v120, v116
	v_sub_f32_e32 v115, v154, v115
	s_delay_alu instid0(VALU_DEP_1) | instskip(NEXT) | instid1(VALU_DEP_1)
	v_add_f32_e32 v115, v115, v198
	v_dual_add_f32 v115, v117, v115 :: v_dual_mul_f32 v120, 0xbf7ba420, v142
	s_delay_alu instid0(VALU_DEP_1) | instskip(NEXT) | instid1(VALU_DEP_1)
	v_add_f32_e32 v120, v120, v159
	v_dual_mul_f32 v117, 0xbe3c28d5, v143 :: v_dual_add_f32 v116, v120, v116
	s_delay_alu instid0(VALU_DEP_1) | instskip(NEXT) | instid1(VALU_DEP_1)
	v_dual_sub_f32 v117, v160, v117 :: v_dual_mul_f32 v120, 0xbf59a7d5, v144
	v_add_f32_e32 v115, v117, v115
	s_delay_alu instid0(VALU_DEP_2) | instskip(NEXT) | instid1(VALU_DEP_1)
	v_dual_mul_f32 v117, 0x3f06c442, v145 :: v_dual_add_f32 v120, v120, v163
	v_sub_f32_e32 v117, v164, v117
	s_delay_alu instid0(VALU_DEP_1) | instskip(SKIP_1) | instid1(VALU_DEP_1)
	v_add_f32_e32 v115, v117, v115
	v_mul_f32_e32 v117, 0x3f763a35, v147
	v_sub_f32_e32 v117, v168, v117
	s_delay_alu instid0(VALU_DEP_1) | instskip(SKIP_1) | instid1(VALU_DEP_1)
	v_add_f32_e32 v115, v117, v115
	v_dual_mul_f32 v117, 0x3f65296c, v149 :: v_dual_add_f32 v116, v120, v116
	v_dual_mul_f32 v120, 0xbe8c1d8e, v146 :: v_dual_sub_f32 v117, v171, v117
	s_delay_alu instid0(VALU_DEP_1) | instskip(NEXT) | instid1(VALU_DEP_1)
	v_add_f32_e32 v120, v120, v165
	v_add_f32_e32 v116, v120, v116
	s_delay_alu instid0(VALU_DEP_3) | instskip(NEXT) | instid1(VALU_DEP_1)
	v_dual_mul_f32 v120, 0x3ee437d1, v148 :: v_dual_add_f32 v115, v117, v115
	v_add_f32_e32 v120, v120, v169
	s_delay_alu instid0(VALU_DEP_1) | instskip(NEXT) | instid1(VALU_DEP_1)
	v_dual_mul_f32 v117, 0x3eb8f4ab, v153 :: v_dual_add_f32 v120, v120, v116
	v_dual_sub_f32 v117, v174, v117 :: v_dual_mul_f32 v116, 0x3f6eb680, v150
	s_delay_alu instid0(VALU_DEP_1) | instskip(SKIP_2) | instid1(VALU_DEP_3)
	v_dual_add_f32 v151, v116, v173 :: v_dual_add_f32 v116, v117, v115
	v_add_f32_e32 v117, v118, v200
	v_fma_f32 v118, 0x3ee437d1, v138, -v211
	v_add_f32_e32 v115, v151, v120
	v_fma_f32 v120, 0x3dbcf732, v140, -v212
	s_delay_alu instid0(VALU_DEP_3) | instskip(NEXT) | instid1(VALU_DEP_1)
	v_add_f32_e32 v118, v118, v201
	v_dual_add_f32 v117, v182, v117 :: v_dual_add_f32 v118, v120, v118
	v_fma_f32 v120, 0xbf1a4643, v142, -v213
	s_delay_alu instid0(VALU_DEP_1) | instskip(SKIP_1) | instid1(VALU_DEP_1)
	v_dual_add_f32 v117, v209, v117 :: v_dual_add_f32 v118, v120, v118
	v_fma_f32 v120, 0x3f6eb680, v144, -v215
	v_dual_fmac_f32 v121, 0xbe3c28d5, v147 :: v_dual_add_f32 v118, v120, v118
	v_fma_f32 v120, 0xbf7ba420, v146, -v216
	s_delay_alu instid0(VALU_DEP_1) | instskip(SKIP_1) | instid1(VALU_DEP_1)
	v_add_f32_e32 v118, v120, v118
	v_fma_f32 v120, 0x3f3d2fb0, v148, -v217
	v_add_f32_e32 v120, v120, v118
	v_fmac_f32_e32 v210, 0xbeb8f4ab, v145
	s_delay_alu instid0(VALU_DEP_1) | instskip(NEXT) | instid1(VALU_DEP_1)
	v_add_f32_e32 v117, v210, v117
	v_add_f32_e32 v117, v121, v117
	v_fma_f32 v121, 0xbe8c1d8e, v150, -v219
	s_delay_alu instid0(VALU_DEP_2) | instskip(NEXT) | instid1(VALU_DEP_1)
	v_add_f32_e32 v117, v214, v117
	v_dual_add_f32 v118, v218, v117 :: v_dual_add_f32 v117, v121, v120
	v_fma_f32 v121, 0xbf7ba420, v138, -v157
	v_fma_f32 v120, 0xbf59a7d5, v138, -v197
	s_delay_alu instid0(VALU_DEP_2) | instskip(SKIP_1) | instid1(VALU_DEP_3)
	v_add_f32_e32 v96, v121, v96
	v_fma_f32 v121, 0xbe8c1d8e, v140, -v123
	v_add_f32_e32 v94, v120, v94
	v_fma_f32 v120, 0x3f3d2fb0, v140, -v203
	s_delay_alu instid0(VALU_DEP_3) | instskip(SKIP_2) | instid1(VALU_DEP_4)
	v_add_f32_e32 v96, v121, v96
	v_fma_f32 v121, 0x3f6eb680, v142, -v161
	v_fmac_f32_e32 v223, 0x3eb8f4ab, v143
	v_dual_add_f32 v119, v193, v119 :: v_dual_add_f32 v94, v120, v94
	v_fma_f32 v120, 0x3ee437d1, v142, -v204
	s_delay_alu instid0(VALU_DEP_4)
	v_add_f32_e32 v96, v121, v96
	v_fma_f32 v121, 0x3ee437d1, v144, -v170
	v_fmac_f32_e32 v194, 0xbe3c28d5, v145
	v_fmac_f32_e32 v222, 0x3f763a35, v141
	v_add_f32_e32 v94, v120, v94
	v_fma_f32 v120, 0xbf7ba420, v144, -v205
	v_add_f32_e32 v96, v121, v96
	v_fma_f32 v121, 0xbf59a7d5, v146, -v175
	v_add_f32_e32 v119, v194, v119
	s_delay_alu instid0(VALU_DEP_4) | instskip(SKIP_1) | instid1(VALU_DEP_4)
	v_dual_add_f32 v95, v222, v95 :: v_dual_add_f32 v94, v120, v94
	v_fma_f32 v120, 0x3dbcf732, v146, -v206
	v_add_f32_e32 v96, v121, v96
	v_fma_f32 v121, 0xbf1a4643, v148, -v177
	s_delay_alu instid0(VALU_DEP_1) | instskip(SKIP_3) | instid1(VALU_DEP_3)
	v_dual_add_f32 v95, v223, v95 :: v_dual_add_f32 v96, v121, v96
	v_fmac_f32_e32 v196, 0x3f7ee86f, v147
	v_fmac_f32_e32 v224, 0xbf65296c, v145
	v_fma_f32 v121, 0xbf1a4643, v150, -v220
	v_add_f32_e32 v119, v196, v119
	s_delay_alu instid0(VALU_DEP_3) | instskip(SKIP_2) | instid1(VALU_DEP_4)
	v_add_f32_e32 v95, v224, v95
	v_add_f32_e32 v94, v120, v94
	v_fma_f32 v120, 0x3f6eb680, v148, -v207
	v_add_f32_e32 v119, v122, v119
	s_delay_alu instid0(VALU_DEP_4) | instskip(NEXT) | instid1(VALU_DEP_3)
	v_dual_add_f32 v95, v225, v95 :: v_dual_fmac_f32 v226, 0x3f2c7751, v153
	v_add_f32_e32 v94, v120, v94
	v_fma_f32 v122, 0x3f3d2fb0, v150, -v179
	s_delay_alu instid0(VALU_DEP_3) | instskip(SKIP_1) | instid1(VALU_DEP_1)
	v_add_f32_e32 v120, v166, v95
	v_mul_lo_u16 v95, v128, 17
	v_dual_add_f32 v94, v121, v94 :: v_dual_and_b32 v95, 0xffff, v95
	s_delay_alu instid0(VALU_DEP_1) | instskip(NEXT) | instid1(VALU_DEP_4)
	v_lshlrev_b32_e32 v123, 3, v95
	v_dual_add_f32 v95, v208, v119 :: v_dual_add_f32 v120, v226, v120
	v_add_f32_e32 v119, v122, v96
	ds_store_2addr_b64 v123, v[88:89], v[92:93] offset1:1
	ds_store_2addr_b64 v123, v[115:116], v[113:114] offset0:2 offset1:3
	ds_store_2addr_b64 v123, v[111:112], v[109:110] offset0:4 offset1:5
	;; [unrolled: 1-line block ×7, first 2 shown]
	ds_store_b64 v123, v[80:81] offset:128
.LBB0_17:
	s_wait_alu 0xfffe
	s_or_b32 exec_lo, exec_lo, s1
	v_add_nc_u32_e32 v93, 0xc00, v129
	v_add_nc_u32_e32 v92, 0x2400, v129
	;; [unrolled: 1-line block ×3, first 2 shown]
	global_wb scope:SCOPE_SE
	s_wait_dscnt 0x0
	s_barrier_signal -1
	s_barrier_wait -1
	global_inv scope:SCOPE_SE
	ds_load_2addr_b64 v[98:101], v93 offset0:92 offset1:211
	ds_load_2addr_b64 v[102:105], v92 offset0:38 offset1:157
	;; [unrolled: 1-line block ×3, first 2 shown]
	v_add_nc_u32_e32 v96, 0x1c00, v129
	s_wait_dscnt 0x1
	v_dual_mul_f32 v122, v29, v101 :: v_dual_mul_f32 v123, v31, v103
	s_wait_dscnt 0x0
	v_dual_mul_f32 v142, v25, v107 :: v_dual_add_nc_u32 v95, 0x2c00, v129
	v_mul_f32_e32 v31, v31, v102
	v_mul_f32_e32 v29, v29, v100
	v_fmac_f32_e32 v123, v30, v102
	v_mul_f32_e32 v143, v27, v105
	v_mul_f32_e32 v27, v27, v104
	v_dual_fmac_f32 v122, v28, v100 :: v_dual_add_nc_u32 v97, 0x400, v129
	v_fmac_f32_e32 v142, v24, v106
	ds_load_2addr_b64 v[110:113], v129 offset1:119
	ds_load_b64 v[88:89], v129 offset:13328
	ds_load_2addr_b64 v[114:117], v97 offset0:110 offset1:229
	ds_load_2addr_b64 v[118:121], v95 offset0:20 offset1:139
	ds_load_2addr_b64 v[138:141], v96 offset0:56 offset1:175
	v_fma_f32 v28, v28, v101, -v29
	v_fma_f32 v29, v30, v103, -v31
	global_wb scope:SCOPE_SE
	s_wait_dscnt 0x0
	s_barrier_signal -1
	s_barrier_wait -1
	global_inv scope:SCOPE_SE
	v_mul_f32_e32 v101, v7, v121
	v_mul_f32_e32 v31, v5, v139
	;; [unrolled: 1-line block ×5, first 2 shown]
	v_fmac_f32_e32 v101, v6, v120
	v_fmac_f32_e32 v31, v4, v138
	v_mul_f32_e32 v1, v1, v140
	v_fma_f32 v102, v4, v139, -v5
	v_fmac_f32_e32 v103, v0, v140
	v_sub_f32_e32 v5, v28, v29
	v_fmac_f32_e32 v143, v26, v104
	v_fma_f32 v26, v26, v105, -v27
	v_fma_f32 v104, v6, v121, -v7
	v_mul_f32_e32 v105, v3, v89
	v_mul_f32_e32 v3, v3, v88
	v_dual_add_f32 v6, v111, v28 :: v_dual_mul_f32 v25, v25, v106
	v_fma_f32 v106, v0, v141, -v1
	v_add_f32_e32 v0, v122, v123
	v_fmac_f32_e32 v105, v2, v88
	v_fma_f32 v89, v2, v89, -v3
	v_dual_add_f32 v3, v28, v29 :: v_dual_sub_f32 v88, v102, v104
	v_add_f32_e32 v1, v110, v122
	v_fma_f32 v0, -0.5, v0, v110
	v_fma_f32 v24, v24, v107, -v25
	v_sub_f32_e32 v7, v122, v123
	v_mul_f32_e32 v27, v11, v119
	v_add_f32_e32 v2, v1, v123
	v_fma_f32 v1, -0.5, v3, v111
	v_fmamk_f32 v4, v5, 0xbf5db3d7, v0
	v_mul_f32_e32 v25, v9, v109
	v_dual_mul_f32 v9, v9, v108 :: v_dual_fmac_f32 v0, 0x3f5db3d7, v5
	v_add_f32_e32 v3, v6, v29
	v_dual_add_f32 v6, v142, v143 :: v_dual_fmamk_f32 v5, v7, 0x3f5db3d7, v1
	s_delay_alu instid0(VALU_DEP_3)
	v_fma_f32 v30, v8, v109, -v9
	v_fmac_f32_e32 v1, 0xbf5db3d7, v7
	v_add_f32_e32 v7, v24, v26
	v_sub_f32_e32 v9, v24, v26
	v_fmac_f32_e32 v25, v8, v108
	v_add_f32_e32 v8, v112, v142
	v_mul_f32_e32 v11, v11, v118
	v_fmac_f32_e32 v27, v10, v118
	v_fma_f32 v112, -0.5, v6, v112
	s_delay_alu instid0(VALU_DEP_4) | instskip(NEXT) | instid1(VALU_DEP_4)
	v_dual_add_f32 v29, v115, v30 :: v_dual_add_f32 v6, v8, v143
	v_fma_f32 v100, v10, v119, -v11
	v_dual_add_f32 v10, v113, v24 :: v_dual_fmac_f32 v113, -0.5, v7
	s_delay_alu instid0(VALU_DEP_4) | instskip(NEXT) | instid1(VALU_DEP_2)
	v_dual_sub_f32 v11, v142, v143 :: v_dual_fmamk_f32 v8, v9, 0xbf5db3d7, v112
	v_dual_fmac_f32 v112, 0x3f5db3d7, v9 :: v_dual_add_f32 v7, v10, v26
	s_delay_alu instid0(VALU_DEP_2) | instskip(SKIP_3) | instid1(VALU_DEP_4)
	v_dual_add_f32 v10, v25, v27 :: v_dual_fmamk_f32 v9, v11, 0x3f5db3d7, v113
	v_fmac_f32_e32 v113, 0xbf5db3d7, v11
	v_add_f32_e32 v11, v30, v100
	v_add_f32_e32 v24, v114, v25
	v_fma_f32 v10, -0.5, v10, v114
	v_sub_f32_e32 v28, v30, v100
	v_sub_f32_e32 v30, v25, v27
	v_fma_f32 v11, -0.5, v11, v115
	v_dual_add_f32 v24, v24, v27 :: v_dual_add_f32 v25, v29, v100
	s_delay_alu instid0(VALU_DEP_4) | instskip(SKIP_1) | instid1(VALU_DEP_4)
	v_fmamk_f32 v26, v28, 0xbf5db3d7, v10
	v_fmac_f32_e32 v10, 0x3f5db3d7, v28
	v_dual_add_f32 v28, v31, v101 :: v_dual_fmamk_f32 v27, v30, 0x3f5db3d7, v11
	v_add_f32_e32 v29, v116, v31
	v_dual_fmac_f32 v11, 0xbf5db3d7, v30 :: v_dual_add_f32 v30, v102, v104
	s_delay_alu instid0(VALU_DEP_3) | instskip(SKIP_1) | instid1(VALU_DEP_4)
	v_fma_f32 v116, -0.5, v28, v116
	v_sub_f32_e32 v100, v31, v101
	v_add_f32_e32 v28, v29, v101
	v_add_f32_e32 v29, v117, v102
	s_delay_alu instid0(VALU_DEP_4) | instskip(SKIP_1) | instid1(VALU_DEP_3)
	v_dual_fmac_f32 v117, -0.5, v30 :: v_dual_fmamk_f32 v30, v88, 0xbf5db3d7, v116
	v_fmac_f32_e32 v116, 0x3f5db3d7, v88
	v_dual_add_f32 v88, v103, v105 :: v_dual_add_f32 v29, v29, v104
	s_delay_alu instid0(VALU_DEP_3) | instskip(SKIP_2) | instid1(VALU_DEP_4)
	v_fmamk_f32 v31, v100, 0x3f5db3d7, v117
	v_dual_fmac_f32 v117, 0xbf5db3d7, v100 :: v_dual_add_f32 v100, v106, v89
	v_add_f32_e32 v101, v98, v103
	v_fma_f32 v98, -0.5, v88, v98
	v_sub_f32_e32 v102, v106, v89
	s_delay_alu instid0(VALU_DEP_4) | instskip(SKIP_2) | instid1(VALU_DEP_4)
	v_dual_add_f32 v104, v99, v106 :: v_dual_fmac_f32 v99, -0.5, v100
	v_sub_f32_e32 v103, v103, v105
	v_add_f32_e32 v88, v101, v105
	v_fmamk_f32 v100, v102, 0xbf5db3d7, v98
	s_delay_alu instid0(VALU_DEP_4) | instskip(NEXT) | instid1(VALU_DEP_4)
	v_dual_fmac_f32 v98, 0x3f5db3d7, v102 :: v_dual_add_f32 v89, v104, v89
	v_fmamk_f32 v101, v103, 0x3f5db3d7, v99
	v_fmac_f32_e32 v99, 0xbf5db3d7, v103
	ds_store_2addr_b64 v136, v[2:3], v[4:5] offset1:17
	ds_store_b64 v136, v[0:1] offset:272
	ds_store_2addr_b64 v137, v[6:7], v[8:9] offset1:17
	ds_store_b64 v137, v[112:113] offset:272
	;; [unrolled: 2-line block ×5, first 2 shown]
	global_wb scope:SCOPE_SE
	s_wait_dscnt 0x0
	s_barrier_signal -1
	s_barrier_wait -1
	global_inv scope:SCOPE_SE
	ds_load_2addr_b64 v[0:3], v97 offset0:110 offset1:229
	ds_load_2addr_b64 v[4:7], v94 offset0:74 offset1:193
	;; [unrolled: 1-line block ×5, first 2 shown]
	ds_load_2addr_b64 v[98:101], v129 offset1:119
	ds_load_2addr_b64 v[102:105], v92 offset0:38 offset1:157
	ds_load_b64 v[88:89], v129 offset:13328
	global_wb scope:SCOPE_SE
	s_wait_dscnt 0x0
	s_barrier_signal -1
	s_barrier_wait -1
	global_inv scope:SCOPE_SE
	v_mul_f32_e32 v106, v53, v3
	v_mul_f32_e32 v53, v53, v2
	;; [unrolled: 1-line block ×3, first 2 shown]
	v_dual_mul_f32 v55, v55, v4 :: v_dual_mul_f32 v108, v49, v11
	s_delay_alu instid0(VALU_DEP_4) | instskip(NEXT) | instid1(VALU_DEP_4)
	v_fmac_f32_e32 v106, v52, v2
	v_fma_f32 v52, v52, v3, -v53
	v_mul_f32_e32 v2, v49, v10
	s_delay_alu instid0(VALU_DEP_4)
	v_fma_f32 v53, v54, v5, -v55
	v_mul_f32_e32 v5, v51, v25
	v_mul_f32_e32 v3, v51, v24
	v_fmac_f32_e32 v107, v54, v4
	v_mul_f32_e32 v49, v45, v29
	v_mul_f32_e32 v4, v45, v28
	v_fma_f32 v45, v48, v11, -v2
	v_fmac_f32_e32 v5, v50, v24
	v_fma_f32 v24, v50, v25, -v3
	v_fmac_f32_e32 v49, v44, v28
	v_fma_f32 v44, v44, v29, -v4
	v_mul_f32_e32 v2, v47, v6
	s_delay_alu instid0(VALU_DEP_4) | instskip(SKIP_3) | instid1(VALU_DEP_3)
	v_dual_mul_f32 v3, v37, v102 :: v_dual_sub_f32 v28, v24, v45
	v_mul_f32_e32 v29, v47, v7
	v_mul_f32_e32 v47, v37, v103
	v_dual_mul_f32 v37, v39, v27 :: v_dual_fmac_f32 v108, v48, v10
	v_dual_mul_f32 v4, v43, v8 :: v_dual_fmac_f32 v29, v46, v6
	v_fma_f32 v46, v46, v7, -v2
	v_mul_f32_e32 v2, v39, v26
	v_fmac_f32_e32 v47, v36, v102
	v_fma_f32 v36, v36, v103, -v3
	v_fmac_f32_e32 v37, v38, v26
	v_mul_f32_e32 v3, v41, v30
	v_fma_f32 v38, v38, v27, -v2
	v_mul_f32_e32 v39, v41, v31
	v_dual_mul_f32 v41, v43, v9 :: v_dual_sub_f32 v6, v106, v107
	v_dual_add_f32 v10, v106, v5 :: v_dual_sub_f32 v7, v52, v24
	s_delay_alu instid0(VALU_DEP_3) | instskip(NEXT) | instid1(VALU_DEP_3)
	v_fmac_f32_e32 v39, v40, v30
	v_fmac_f32_e32 v41, v42, v8
	v_sub_f32_e32 v8, v5, v108
	v_fma_f32 v42, v42, v9, -v4
	v_sub_f32_e32 v9, v53, v45
	v_fma_f32 v40, v40, v31, -v3
	v_mul_f32_e32 v3, v33, v104
	v_add_f32_e32 v25, v6, v8
	v_fma_f32 v6, -0.5, v10, v98
	v_add_f32_e32 v4, v98, v106
	v_add_f32_e32 v26, v99, v52
	v_fma_f32 v48, v32, v105, -v3
	s_delay_alu instid0(VALU_DEP_4) | instskip(SKIP_3) | instid1(VALU_DEP_4)
	v_dual_mul_f32 v11, v35, v88 :: v_dual_fmamk_f32 v10, v9, 0x3f737871, v6
	v_fmac_f32_e32 v6, 0xbf737871, v9
	v_dual_add_f32 v2, v107, v108 :: v_dual_add_f32 v3, v4, v107
	v_add_f32_e32 v50, v46, v36
	v_fmac_f32_e32 v10, 0xbf167918, v7
	s_delay_alu instid0(VALU_DEP_4) | instskip(NEXT) | instid1(VALU_DEP_4)
	v_fmac_f32_e32 v6, 0x3f167918, v7
	v_fma_f32 v2, -0.5, v2, v98
	v_add_f32_e32 v3, v3, v108
	s_delay_alu instid0(VALU_DEP_2) | instskip(SKIP_1) | instid1(VALU_DEP_3)
	v_dual_add_f32 v27, v53, v45 :: v_dual_fmamk_f32 v4, v7, 0xbf737871, v2
	v_dual_fmac_f32 v2, 0x3f737871, v7 :: v_dual_add_f32 v7, v52, v24
	v_add_f32_e32 v8, v3, v5
	s_delay_alu instid0(VALU_DEP_3) | instskip(NEXT) | instid1(VALU_DEP_3)
	v_dual_sub_f32 v3, v107, v106 :: v_dual_fmac_f32 v4, 0xbf167918, v9
	v_fmac_f32_e32 v2, 0x3f167918, v9
	v_add_f32_e32 v9, v26, v53
	v_sub_f32_e32 v26, v52, v53
	v_fma_f32 v7, -0.5, v7, v99
	v_fmac_f32_e32 v4, 0x3e9e377a, v25
	v_fmac_f32_e32 v2, 0x3e9e377a, v25
	s_delay_alu instid0(VALU_DEP_4) | instskip(SKIP_2) | instid1(VALU_DEP_3)
	v_dual_add_f32 v9, v9, v45 :: v_dual_add_f32 v26, v26, v28
	v_sub_f32_e32 v28, v53, v52
	v_sub_f32_e32 v25, v107, v108
	v_add_f32_e32 v9, v9, v24
	v_sub_f32_e32 v24, v45, v24
	v_add_f32_e32 v30, v29, v47
	s_delay_alu instid0(VALU_DEP_2) | instskip(NEXT) | instid1(VALU_DEP_2)
	v_add_f32_e32 v28, v28, v24
	v_fma_f32 v24, -0.5, v30, v100
	v_mul_f32_e32 v43, v33, v105
	v_mul_f32_e32 v33, v35, v89
	v_fma_f32 v35, v34, v89, -v11
	v_sub_f32_e32 v11, v108, v5
	s_delay_alu instid0(VALU_DEP_1) | instskip(SKIP_1) | instid1(VALU_DEP_2)
	v_add_f32_e32 v11, v3, v11
	v_fma_f32 v3, -0.5, v27, v99
	v_dual_sub_f32 v27, v106, v5 :: v_dual_fmac_f32 v6, 0x3e9e377a, v11
	v_add_f32_e32 v31, v100, v49
	s_delay_alu instid0(VALU_DEP_2)
	v_fmamk_f32 v5, v27, 0x3f737871, v3
	v_fmac_f32_e32 v3, 0xbf737871, v27
	v_fmac_f32_e32 v10, 0x3e9e377a, v11
	v_fmamk_f32 v11, v25, 0xbf737871, v7
	v_fmac_f32_e32 v7, 0x3f737871, v25
	v_fmac_f32_e32 v5, 0x3f167918, v25
	;; [unrolled: 1-line block ×3, first 2 shown]
	v_add_f32_e32 v25, v31, v29
	v_dual_fmac_f32 v11, 0x3f167918, v27 :: v_dual_sub_f32 v30, v49, v29
	v_fmac_f32_e32 v7, 0xbf167918, v27
	v_fmac_f32_e32 v5, 0x3e9e377a, v26
	s_delay_alu instid0(VALU_DEP_4) | instskip(NEXT) | instid1(VALU_DEP_4)
	v_add_f32_e32 v25, v25, v47
	v_fmac_f32_e32 v11, 0x3e9e377a, v28
	v_fmac_f32_e32 v3, 0x3e9e377a, v26
	;; [unrolled: 1-line block ×3, first 2 shown]
	s_delay_alu instid0(VALU_DEP_4) | instskip(SKIP_3) | instid1(VALU_DEP_1)
	v_dual_sub_f32 v31, v46, v36 :: v_dual_add_f32 v28, v25, v37
	v_sub_f32_e32 v25, v29, v49
	v_fmac_f32_e32 v43, v32, v104
	v_dual_sub_f32 v32, v44, v38 :: v_dual_add_f32 v45, v49, v37
	v_fmamk_f32 v26, v32, 0xbf737871, v24
	v_fmac_f32_e32 v24, 0x3f737871, v32
	s_delay_alu instid0(VALU_DEP_3) | instskip(NEXT) | instid1(VALU_DEP_3)
	v_fma_f32 v100, -0.5, v45, v100
	v_dual_add_f32 v45, v101, v44 :: v_dual_fmac_f32 v26, 0xbf167918, v31
	s_delay_alu instid0(VALU_DEP_3) | instskip(SKIP_1) | instid1(VALU_DEP_1)
	v_dual_fmac_f32 v24, 0x3f167918, v31 :: v_dual_fmac_f32 v33, v34, v88
	v_sub_f32_e32 v34, v37, v47
	v_dual_add_f32 v27, v30, v34 :: v_dual_fmamk_f32 v30, v31, 0x3f737871, v100
	v_sub_f32_e32 v34, v47, v37
	v_dual_fmac_f32 v100, 0xbf737871, v31 :: v_dual_add_f32 v31, v45, v46
	s_delay_alu instid0(VALU_DEP_3) | instskip(NEXT) | instid1(VALU_DEP_3)
	v_dual_sub_f32 v37, v49, v37 :: v_dual_fmac_f32 v30, 0xbf167918, v32
	v_add_f32_e32 v34, v25, v34
	s_delay_alu instid0(VALU_DEP_3) | instskip(SKIP_2) | instid1(VALU_DEP_4)
	v_fmac_f32_e32 v100, 0x3f167918, v32
	v_fma_f32 v25, -0.5, v50, v101
	v_dual_add_f32 v31, v31, v36 :: v_dual_add_f32 v32, v44, v38
	v_dual_fmac_f32 v30, 0x3e9e377a, v34 :: v_dual_sub_f32 v49, v38, v36
	s_delay_alu instid0(VALU_DEP_4)
	v_fmac_f32_e32 v100, 0x3e9e377a, v34
	v_sub_f32_e32 v34, v46, v44
	v_sub_f32_e32 v36, v36, v38
	v_fmac_f32_e32 v26, 0x3e9e377a, v27
	v_fmac_f32_e32 v24, 0x3e9e377a, v27
	v_fmamk_f32 v27, v37, 0x3f737871, v25
	v_sub_f32_e32 v45, v29, v47
	v_sub_f32_e32 v47, v44, v46
	v_fmac_f32_e32 v101, -0.5, v32
	v_add_f32_e32 v29, v31, v38
	v_dual_fmac_f32 v25, 0xbf737871, v37 :: v_dual_add_f32 v38, v41, v43
	v_add_f32_e32 v34, v34, v36
	v_dual_add_f32 v36, v0, v39 :: v_dual_fmac_f32 v27, 0x3f167918, v45
	v_dual_add_f32 v32, v47, v49 :: v_dual_fmamk_f32 v31, v45, 0xbf737871, v101
	s_delay_alu instid0(VALU_DEP_4)
	v_fmac_f32_e32 v25, 0xbf167918, v45
	v_fmac_f32_e32 v101, 0x3f737871, v45
	v_fma_f32 v88, -0.5, v38, v0
	v_sub_f32_e32 v38, v40, v35
	v_add_f32_e32 v36, v36, v41
	v_dual_add_f32 v46, v39, v33 :: v_dual_fmac_f32 v27, 0x3e9e377a, v32
	v_fmac_f32_e32 v31, 0x3f167918, v37
	v_fmac_f32_e32 v25, 0x3e9e377a, v32
	;; [unrolled: 1-line block ×3, first 2 shown]
	v_fmamk_f32 v32, v38, 0xbf737871, v88
	v_dual_sub_f32 v37, v42, v48 :: v_dual_sub_f32 v44, v39, v41
	v_dual_sub_f32 v45, v33, v43 :: v_dual_fmac_f32 v88, 0x3f737871, v38
	v_add_f32_e32 v36, v36, v43
	v_fma_f32 v0, -0.5, v46, v0
	v_fmac_f32_e32 v31, 0x3e9e377a, v34
	v_fmac_f32_e32 v32, 0xbf167918, v37
	v_add_f32_e32 v44, v44, v45
	v_fmac_f32_e32 v88, 0x3f167918, v37
	v_dual_fmac_f32 v101, 0x3e9e377a, v34 :: v_dual_add_f32 v34, v36, v33
	v_fmamk_f32 v36, v37, 0x3f737871, v0
	v_fmac_f32_e32 v0, 0xbf737871, v37
	v_fmac_f32_e32 v32, 0x3e9e377a, v44
	;; [unrolled: 1-line block ×3, first 2 shown]
	v_dual_add_f32 v44, v42, v48 :: v_dual_sub_f32 v45, v41, v39
	v_dual_sub_f32 v46, v43, v33 :: v_dual_add_f32 v37, v1, v40
	v_fmac_f32_e32 v36, 0xbf167918, v38
	v_fmac_f32_e32 v0, 0x3f167918, v38
	v_add_f32_e32 v38, v40, v35
	v_fma_f32 v89, -0.5, v44, v1
	v_dual_sub_f32 v39, v39, v33 :: v_dual_add_f32 v44, v45, v46
	v_add_f32_e32 v37, v37, v42
	v_sub_f32_e32 v41, v41, v43
	v_fmac_f32_e32 v1, -0.5, v38
	s_delay_alu instid0(VALU_DEP_4)
	v_fmamk_f32 v33, v39, 0x3f737871, v89
	v_fmac_f32_e32 v36, 0x3e9e377a, v44
	v_fmac_f32_e32 v0, 0x3e9e377a, v44
	v_dual_add_f32 v43, v37, v48 :: v_dual_sub_f32 v38, v40, v42
	v_dual_sub_f32 v44, v35, v48 :: v_dual_fmamk_f32 v37, v41, 0xbf737871, v1
	v_sub_f32_e32 v40, v42, v40
	v_dual_sub_f32 v42, v48, v35 :: v_dual_fmac_f32 v1, 0x3f737871, v41
	s_delay_alu instid0(VALU_DEP_3) | instskip(SKIP_1) | instid1(VALU_DEP_3)
	v_dual_add_f32 v38, v38, v44 :: v_dual_fmac_f32 v89, 0xbf737871, v39
	v_fmac_f32_e32 v33, 0x3f167918, v41
	v_dual_fmac_f32 v37, 0x3f167918, v39 :: v_dual_add_f32 v40, v40, v42
	s_delay_alu instid0(VALU_DEP_4) | instskip(NEXT) | instid1(VALU_DEP_4)
	v_fmac_f32_e32 v1, 0xbf167918, v39
	v_fmac_f32_e32 v89, 0xbf167918, v41
	v_add_f32_e32 v35, v43, v35
	v_fmac_f32_e32 v33, 0x3e9e377a, v38
	v_fmac_f32_e32 v37, 0x3e9e377a, v40
	;; [unrolled: 1-line block ×4, first 2 shown]
	ds_store_2addr_b64 v132, v[8:9], v[4:5] offset1:51
	ds_store_2addr_b64 v132, v[10:11], v[6:7] offset0:102 offset1:153
	ds_store_b64 v132, v[2:3] offset:1632
	ds_store_2addr_b64 v131, v[28:29], v[26:27] offset1:51
	ds_store_2addr_b64 v131, v[30:31], v[100:101] offset0:102 offset1:153
	ds_store_b64 v131, v[24:25] offset:1632
	;; [unrolled: 3-line block ×3, first 2 shown]
	global_wb scope:SCOPE_SE
	s_wait_dscnt 0x0
	s_barrier_signal -1
	s_barrier_wait -1
	global_inv scope:SCOPE_SE
	ds_load_2addr_b64 v[0:3], v129 offset1:119
	ds_load_2addr_b64 v[36:39], v97 offset0:127 offset1:246
	ds_load_2addr_b64 v[28:31], v93 offset0:126 offset1:245
	ds_load_2addr_b64 v[32:35], v94 offset0:125 offset1:244
	ds_load_2addr_b64 v[4:7], v96 offset0:124 offset1:243
	ds_load_2addr_b64 v[8:11], v92 offset0:123 offset1:242
	ds_load_2addr_b64 v[24:27], v95 offset0:122 offset1:241
	s_and_saveexec_b32 s1, s0
	s_cbranch_execz .LBB0_19
; %bb.18:
	v_add_nc_u32_e32 v40, 0x770, v129
	v_add_nc_u32_e32 v41, 0x1760, v129
	;; [unrolled: 1-line block ×3, first 2 shown]
	ds_load_2addr_b64 v[88:91], v40 offset1:255
	ds_load_2addr_b64 v[80:83], v41 offset1:255
	;; [unrolled: 1-line block ×3, first 2 shown]
	ds_load_b64 v[125:126], v129 offset:14144
.LBB0_19:
	s_wait_alu 0xfffe
	s_or_b32 exec_lo, exec_lo, s1
	s_wait_dscnt 0x4
	v_dual_mul_f32 v40, v77, v37 :: v_dual_mul_f32 v43, v79, v28
	v_dual_mul_f32 v41, v77, v36 :: v_dual_mul_f32 v42, v79, v29
	s_wait_dscnt 0x1
	v_mul_f32_e32 v44, v57, v9
	s_delay_alu instid0(VALU_DEP_3) | instskip(NEXT) | instid1(VALU_DEP_3)
	v_fmac_f32_e32 v40, v76, v36
	v_fma_f32 v36, v76, v37, -v41
	v_dual_fmac_f32 v42, v78, v28 :: v_dual_mul_f32 v41, v71, v5
	v_fma_f32 v28, v78, v29, -v43
	v_mul_f32_e32 v29, v69, v33
	v_mul_f32_e32 v37, v69, v32
	;; [unrolled: 1-line block ×3, first 2 shown]
	v_fmac_f32_e32 v41, v70, v4
	v_fmac_f32_e32 v44, v56, v8
	v_fmac_f32_e32 v29, v68, v32
	s_delay_alu instid0(VALU_DEP_4)
	v_fma_f32 v4, v70, v5, -v43
	s_wait_dscnt 0x0
	v_dual_mul_f32 v5, v57, v8 :: v_dual_mul_f32 v8, v59, v25
	v_fma_f32 v32, v68, v33, -v37
	v_mul_f32_e32 v37, v73, v39
	v_mul_f32_e32 v33, v59, v24
	s_delay_alu instid0(VALU_DEP_4) | instskip(SKIP_1) | instid1(VALU_DEP_4)
	v_dual_mul_f32 v43, v73, v38 :: v_dual_fmac_f32 v8, v58, v24
	v_mul_f32_e32 v24, v75, v30
	v_dual_fmac_f32 v37, v72, v38 :: v_dual_mul_f32 v38, v75, v31
	s_delay_alu instid0(VALU_DEP_1)
	v_fmac_f32_e32 v38, v74, v30
	v_fma_f32 v5, v56, v9, -v5
	v_fma_f32 v9, v58, v25, -v33
	;; [unrolled: 1-line block ×3, first 2 shown]
	v_mul_f32_e32 v43, v67, v7
	v_mul_f32_e32 v39, v65, v35
	;; [unrolled: 1-line block ×3, first 2 shown]
	v_fma_f32 v30, v74, v31, -v24
	v_mul_f32_e32 v24, v61, v10
	v_fmac_f32_e32 v43, v66, v6
	v_mul_f32_e32 v6, v67, v6
	v_dual_fmac_f32 v39, v64, v34 :: v_dual_mul_f32 v34, v61, v11
	s_delay_alu instid0(VALU_DEP_4) | instskip(SKIP_1) | instid1(VALU_DEP_4)
	v_fma_f32 v46, v60, v11, -v24
	v_sub_f32_e32 v24, v42, v44
	v_fma_f32 v45, v66, v7, -v6
	v_add_f32_e32 v6, v40, v8
	v_fma_f32 v31, v64, v35, -v25
	v_dual_mul_f32 v35, v63, v27 :: v_dual_fmac_f32 v34, v60, v10
	v_dual_mul_f32 v25, v63, v26 :: v_dual_sub_f32 v8, v40, v8
	v_add_f32_e32 v10, v42, v44
	s_delay_alu instid0(VALU_DEP_3) | instskip(SKIP_1) | instid1(VALU_DEP_4)
	v_dual_fmac_f32 v35, v62, v26 :: v_dual_add_f32 v26, v32, v4
	v_sub_f32_e32 v4, v4, v32
	v_fma_f32 v47, v62, v27, -v25
	v_sub_f32_e32 v27, v41, v29
	v_add_f32_e32 v7, v36, v9
	v_add_f32_e32 v25, v29, v41
	v_dual_sub_f32 v9, v36, v9 :: v_dual_sub_f32 v32, v10, v6
	s_delay_alu instid0(VALU_DEP_4) | instskip(SKIP_1) | instid1(VALU_DEP_4)
	v_dual_add_f32 v40, v27, v24 :: v_dual_add_f32 v11, v28, v5
	v_dual_sub_f32 v5, v28, v5 :: v_dual_add_f32 v28, v10, v6
	v_sub_f32_e32 v10, v25, v10
	v_sub_f32_e32 v6, v6, v25
	s_delay_alu instid0(VALU_DEP_4) | instskip(SKIP_4) | instid1(VALU_DEP_4)
	v_sub_f32_e32 v36, v11, v7
	v_add_f32_e32 v29, v11, v7
	v_dual_sub_f32 v7, v7, v26 :: v_dual_sub_f32 v44, v4, v5
	v_dual_sub_f32 v11, v26, v11 :: v_dual_sub_f32 v42, v27, v24
	v_sub_f32_e32 v24, v24, v8
	v_dual_sub_f32 v27, v8, v27 :: v_dual_add_f32 v26, v26, v29
	v_dual_add_f32 v25, v25, v28 :: v_dual_mul_f32 v6, 0x3f4a47b2, v6
	v_dual_add_f32 v41, v4, v5 :: v_dual_sub_f32 v4, v9, v4
	v_dual_sub_f32 v5, v5, v9 :: v_dual_add_f32 v8, v40, v8
	s_delay_alu instid0(VALU_DEP_3) | instskip(SKIP_1) | instid1(VALU_DEP_4)
	v_dual_add_f32 v0, v0, v25 :: v_dual_add_f32 v1, v1, v26
	v_mul_f32_e32 v29, 0x3d64c772, v11
	v_dual_mul_f32 v40, 0x3f08b237, v42 :: v_dual_add_f32 v9, v41, v9
	v_mul_f32_e32 v28, 0x3d64c772, v10
	v_mul_f32_e32 v41, 0x3f08b237, v44
	v_dual_fmamk_f32 v25, v25, 0xbf955555, v0 :: v_dual_fmamk_f32 v26, v26, 0xbf955555, v1
	v_fmamk_f32 v10, v10, 0x3d64c772, v6
	v_mul_f32_e32 v7, 0x3f4a47b2, v7
	v_fma_f32 v29, 0x3f3bfb3b, v36, -v29
	v_mul_f32_e32 v42, 0xbf5ff5aa, v24
	v_fma_f32 v24, 0xbf5ff5aa, v24, -v40
	v_fma_f32 v28, 0x3f3bfb3b, v32, -v28
	;; [unrolled: 1-line block ×3, first 2 shown]
	v_fmamk_f32 v32, v27, 0xbeae86e6, v40
	v_fma_f32 v27, 0x3eae86e6, v27, -v42
	v_dual_add_f32 v42, v10, v25 :: v_dual_fmamk_f32 v11, v11, 0x3d64c772, v7
	v_add_f32_e32 v10, v28, v25
	v_fma_f32 v7, 0xbf3bfb3b, v36, -v7
	v_fmac_f32_e32 v24, 0xbee1c552, v8
	v_fmamk_f32 v36, v4, 0xbeae86e6, v41
	v_fmac_f32_e32 v27, 0xbee1c552, v8
	v_mul_f32_e32 v44, 0xbf5ff5aa, v5
	v_fma_f32 v40, 0xbf5ff5aa, v5, -v41
	v_add_f32_e32 v25, v6, v25
	v_fmac_f32_e32 v36, 0xbee1c552, v9
	s_delay_alu instid0(VALU_DEP_4) | instskip(SKIP_2) | instid1(VALU_DEP_4)
	v_fma_f32 v41, 0x3eae86e6, v4, -v44
	v_add_f32_e32 v44, v11, v26
	v_dual_add_f32 v11, v29, v26 :: v_dual_fmac_f32 v32, 0xbee1c552, v8
	v_dual_add_f32 v4, v36, v42 :: v_dual_add_f32 v29, v33, v47
	s_delay_alu instid0(VALU_DEP_4) | instskip(NEXT) | instid1(VALU_DEP_3)
	v_fmac_f32_e32 v41, 0xbee1c552, v9
	v_dual_fmac_f32 v40, 0xbee1c552, v9 :: v_dual_add_f32 v9, v24, v11
	s_delay_alu instid0(VALU_DEP_4) | instskip(NEXT) | instid1(VALU_DEP_3)
	v_dual_add_f32 v26, v7, v26 :: v_dual_sub_f32 v5, v44, v32
	v_dual_add_f32 v6, v41, v25 :: v_dual_sub_f32 v11, v11, v24
	s_delay_alu instid0(VALU_DEP_2)
	v_dual_sub_f32 v24, v25, v41 :: v_dual_sub_f32 v7, v26, v27
	v_dual_add_f32 v25, v27, v26 :: v_dual_sub_f32 v26, v42, v36
	v_add_f32_e32 v27, v32, v44
	v_dual_sub_f32 v8, v10, v40 :: v_dual_sub_f32 v33, v33, v47
	v_add_f32_e32 v10, v40, v10
	v_add_f32_e32 v36, v30, v46
	;; [unrolled: 1-line block ×3, first 2 shown]
	v_dual_sub_f32 v32, v37, v35 :: v_dual_add_f32 v35, v38, v34
	v_add_f32_e32 v37, v39, v43
	v_sub_f32_e32 v39, v43, v39
	s_delay_alu instid0(VALU_DEP_3) | instskip(NEXT) | instid1(VALU_DEP_3)
	v_dual_add_f32 v41, v36, v29 :: v_dual_add_f32 v40, v35, v28
	v_dual_sub_f32 v42, v35, v28 :: v_dual_sub_f32 v35, v37, v35
	v_dual_sub_f32 v43, v36, v29 :: v_dual_sub_f32 v34, v38, v34
	v_dual_add_f32 v38, v31, v45 :: v_dual_sub_f32 v31, v45, v31
	v_sub_f32_e32 v30, v30, v46
	v_dual_sub_f32 v28, v28, v37 :: v_dual_add_f32 v37, v37, v40
	s_delay_alu instid0(VALU_DEP_3) | instskip(NEXT) | instid1(VALU_DEP_3)
	v_dual_sub_f32 v29, v29, v38 :: v_dual_sub_f32 v36, v38, v36
	v_sub_f32_e32 v47, v31, v30
	v_add_f32_e32 v44, v39, v34
	v_add_f32_e32 v45, v31, v30
	s_delay_alu instid0(VALU_DEP_4) | instskip(SKIP_2) | instid1(VALU_DEP_3)
	v_dual_mul_f32 v29, 0x3f4a47b2, v29 :: v_dual_sub_f32 v46, v39, v34
	v_add_f32_e32 v38, v38, v41
	v_dual_mul_f32 v40, 0x3d64c772, v35 :: v_dual_mul_f32 v41, 0x3d64c772, v36
	v_fmamk_f32 v36, v36, 0x3d64c772, v29
	v_mul_f32_e32 v28, 0x3f4a47b2, v28
	v_dual_add_f32 v2, v2, v37 :: v_dual_sub_f32 v39, v32, v39
	v_sub_f32_e32 v31, v33, v31
	v_fma_f32 v41, 0x3f3bfb3b, v43, -v41
	s_delay_alu instid0(VALU_DEP_4) | instskip(NEXT) | instid1(VALU_DEP_4)
	v_dual_fmamk_f32 v35, v35, 0x3d64c772, v28 :: v_dual_sub_f32 v30, v30, v33
	v_fmamk_f32 v37, v37, 0xbf955555, v2
	v_add_f32_e32 v33, v45, v33
	v_dual_mul_f32 v45, 0x3f08b237, v47 :: v_dual_sub_f32 v34, v34, v32
	v_dual_add_f32 v3, v3, v38 :: v_dual_add_f32 v32, v44, v32
	v_mul_f32_e32 v47, 0xbf5ff5aa, v30
	v_fma_f32 v40, 0x3f3bfb3b, v42, -v40
	v_mul_f32_e32 v44, 0x3f08b237, v46
	v_fma_f32 v28, 0xbf3bfb3b, v42, -v28
	;; [unrolled: 2-line block ×3, first 2 shown]
	s_delay_alu instid0(VALU_DEP_4) | instskip(NEXT) | instid1(VALU_DEP_3)
	v_fmamk_f32 v42, v39, 0xbeae86e6, v44
	v_fma_f32 v39, 0x3eae86e6, v39, -v46
	v_add_f32_e32 v46, v35, v37
	s_delay_alu instid0(VALU_DEP_3)
	v_dual_add_f32 v35, v40, v37 :: v_dual_fmac_f32 v42, 0xbee1c552, v32
	v_fmamk_f32 v38, v38, 0xbf955555, v3
	v_fmamk_f32 v43, v31, 0xbeae86e6, v45
	v_fma_f32 v44, 0xbf5ff5aa, v34, -v44
	v_fma_f32 v34, 0xbf5ff5aa, v30, -v45
	;; [unrolled: 1-line block ×3, first 2 shown]
	v_add_f32_e32 v47, v36, v38
	v_add_f32_e32 v36, v41, v38
	v_dual_add_f32 v38, v29, v38 :: v_dual_fmac_f32 v43, 0xbee1c552, v33
	v_add_f32_e32 v37, v28, v37
	v_fmac_f32_e32 v45, 0xbee1c552, v33
	v_fmac_f32_e32 v39, 0xbee1c552, v32
	;; [unrolled: 1-line block ×4, first 2 shown]
	v_add_f32_e32 v28, v43, v46
	v_dual_sub_f32 v29, v47, v42 :: v_dual_add_f32 v30, v45, v37
	s_delay_alu instid0(VALU_DEP_3)
	v_dual_sub_f32 v31, v38, v39 :: v_dual_sub_f32 v32, v35, v34
	v_dual_add_f32 v33, v44, v36 :: v_dual_add_f32 v34, v34, v35
	v_dual_sub_f32 v35, v36, v44 :: v_dual_sub_f32 v36, v37, v45
	v_dual_add_f32 v37, v39, v38 :: v_dual_sub_f32 v38, v46, v43
	v_add_f32_e32 v39, v42, v47
	ds_store_2addr_b64 v129, v[0:1], v[2:3] offset1:119
	ds_store_2addr_b64 v97, v[4:5], v[28:29] offset0:127 offset1:246
	ds_store_2addr_b64 v93, v[6:7], v[30:31] offset0:126 offset1:245
	;; [unrolled: 1-line block ×6, first 2 shown]
	s_and_saveexec_b32 s1, s0
	s_cbranch_execz .LBB0_21
; %bb.20:
	v_dual_mul_f32 v0, v17, v91 :: v_dual_mul_f32 v1, v15, v85
	v_dual_mul_f32 v2, v13, v83 :: v_dual_mul_f32 v3, v19, v81
	;; [unrolled: 1-line block ×3, first 2 shown]
	s_delay_alu instid0(VALU_DEP_2) | instskip(NEXT) | instid1(VALU_DEP_2)
	v_dual_fmac_f32 v1, v14, v84 :: v_dual_fmac_f32 v2, v12, v82
	v_dual_fmac_f32 v3, v18, v80 :: v_dual_fmac_f32 v4, v20, v86
	s_delay_alu instid0(VALU_DEP_3) | instskip(NEXT) | instid1(VALU_DEP_3)
	v_dual_fmac_f32 v0, v16, v90 :: v_dual_fmac_f32 v5, v22, v125
	v_sub_f32_e32 v6, v1, v2
	v_dual_mul_f32 v8, v23, v125 :: v_dual_mul_f32 v11, v17, v90
	s_delay_alu instid0(VALU_DEP_4) | instskip(NEXT) | instid1(VALU_DEP_4)
	v_sub_f32_e32 v7, v3, v4
	v_sub_f32_e32 v9, v0, v5
	v_dual_add_f32 v5, v5, v0 :: v_dual_add_f32 v2, v2, v1
	s_delay_alu instid0(VALU_DEP_4) | instskip(NEXT) | instid1(VALU_DEP_3)
	v_fma_f32 v8, v22, v126, -v8
	v_dual_sub_f32 v10, v6, v7 :: v_dual_sub_f32 v17, v9, v6
	v_dual_add_f32 v6, v6, v7 :: v_dual_mul_f32 v21, v21, v86
	s_delay_alu instid0(VALU_DEP_2) | instskip(SKIP_1) | instid1(VALU_DEP_3)
	v_dual_mul_f32 v19, v19, v80 :: v_dual_mul_f32 v10, 0x3f08b237, v10
	v_fma_f32 v11, v16, v91, -v11
	v_add_f32_e32 v6, v6, v9
	s_delay_alu instid0(VALU_DEP_4) | instskip(NEXT) | instid1(VALU_DEP_4)
	v_fma_f32 v16, v20, v87, -v21
	v_fma_f32 v18, v18, v81, -v19
	v_mul_f32_e32 v15, v15, v84
	v_add_f32_e32 v19, v8, v11
	v_dual_mul_f32 v13, v13, v82 :: v_dual_add_f32 v4, v4, v3
	v_sub_f32_e32 v8, v11, v8
	s_delay_alu instid0(VALU_DEP_2) | instskip(SKIP_3) | instid1(VALU_DEP_2)
	v_fma_f32 v12, v12, v83, -v13
	v_fma_f32 v13, v14, v85, -v15
	v_dual_add_f32 v14, v16, v18 :: v_dual_fmamk_f32 v15, v17, 0xbeae86e6, v10
	v_add_f32_e32 v3, v4, v5
	v_dual_add_f32 v20, v12, v13 :: v_dual_add_f32 v21, v14, v19
	s_delay_alu instid0(VALU_DEP_3) | instskip(NEXT) | instid1(VALU_DEP_2)
	v_dual_fmac_f32 v15, 0xbee1c552, v6 :: v_dual_sub_f32 v12, v13, v12
	v_sub_f32_e32 v22, v19, v20
	v_sub_f32_e32 v0, v20, v14
	s_delay_alu instid0(VALU_DEP_2) | instskip(NEXT) | instid1(VALU_DEP_2)
	v_dual_add_f32 v21, v20, v21 :: v_dual_mul_f32 v20, 0x3f4a47b2, v22
	v_mul_f32_e32 v22, 0x3d64c772, v0
	s_delay_alu instid0(VALU_DEP_2) | instskip(SKIP_1) | instid1(VALU_DEP_4)
	v_dual_sub_f32 v14, v14, v19 :: v_dual_fmamk_f32 v23, v0, 0x3d64c772, v20
	v_sub_f32_e32 v0, v5, v2
	v_add_f32_e32 v1, v89, v21
	v_add_f32_e32 v3, v2, v3
	v_sub_f32_e32 v13, v18, v16
	v_sub_f32_e32 v2, v2, v4
	v_mul_f32_e32 v16, 0x3f4a47b2, v0
	s_delay_alu instid0(VALU_DEP_4) | instskip(NEXT) | instid1(VALU_DEP_4)
	v_dual_fmamk_f32 v21, v21, 0xbf955555, v1 :: v_dual_add_f32 v0, v88, v3
	v_sub_f32_e32 v11, v12, v13
	v_sub_f32_e32 v25, v8, v12
	;; [unrolled: 1-line block ×3, first 2 shown]
	s_delay_alu instid0(VALU_DEP_4) | instskip(SKIP_3) | instid1(VALU_DEP_4)
	v_dual_add_f32 v18, v23, v21 :: v_dual_fmamk_f32 v23, v2, 0x3d64c772, v16
	v_fmamk_f32 v24, v3, 0xbf955555, v0
	v_mul_f32_e32 v11, 0x3f08b237, v11
	v_dual_mul_f32 v2, 0x3d64c772, v2 :: v_dual_sub_f32 v7, v7, v9
	v_add_f32_e32 v3, v15, v18
	s_delay_alu instid0(VALU_DEP_4) | instskip(NEXT) | instid1(VALU_DEP_4)
	v_dual_add_f32 v23, v23, v24 :: v_dual_add_f32 v12, v12, v13
	v_fmamk_f32 v26, v25, 0xbeae86e6, v11
	s_delay_alu instid0(VALU_DEP_4)
	v_mul_f32_e32 v9, 0xbf5ff5aa, v7
	v_fma_f32 v10, 0xbf5ff5aa, v7, -v10
	v_sub_f32_e32 v5, v13, v8
	v_fma_f32 v16, 0xbf3bfb3b, v4, -v16
	v_add_f32_e32 v8, v12, v8
	v_fma_f32 v13, 0x3eae86e6, v17, -v9
	v_fmac_f32_e32 v10, 0xbee1c552, v6
	v_fma_f32 v9, 0xbf3bfb3b, v14, -v20
	v_dual_mul_f32 v17, 0xbf5ff5aa, v5 :: v_dual_add_f32 v16, v16, v24
	s_delay_alu instid0(VALU_DEP_4) | instskip(SKIP_1) | instid1(VALU_DEP_4)
	v_fmac_f32_e32 v13, 0xbee1c552, v6
	v_fma_f32 v11, 0xbf5ff5aa, v5, -v11
	v_add_f32_e32 v12, v9, v21
	s_delay_alu instid0(VALU_DEP_4) | instskip(SKIP_4) | instid1(VALU_DEP_3)
	v_fma_f32 v17, 0x3eae86e6, v25, -v17
	v_fma_f32 v9, 0x3f3bfb3b, v14, -v22
	;; [unrolled: 1-line block ×3, first 2 shown]
	v_fmac_f32_e32 v11, 0xbee1c552, v8
	v_add_nc_u32_e32 v14, 0x770, v129
	v_dual_add_f32 v9, v9, v21 :: v_dual_add_f32 v2, v2, v24
	v_fmac_f32_e32 v17, 0xbee1c552, v8
	s_delay_alu instid0(VALU_DEP_2) | instskip(NEXT) | instid1(VALU_DEP_3)
	v_dual_fmac_f32 v26, 0xbee1c552, v8 :: v_dual_sub_f32 v7, v9, v10
	v_add_f32_e32 v6, v11, v2
	s_delay_alu instid0(VALU_DEP_3) | instskip(SKIP_1) | instid1(VALU_DEP_4)
	v_dual_sub_f32 v4, v16, v17 :: v_dual_add_f32 v5, v13, v12
	v_dual_sub_f32 v8, v2, v11 :: v_dual_sub_f32 v11, v12, v13
	v_add_f32_e32 v12, v26, v23
	v_sub_f32_e32 v13, v18, v15
	v_dual_add_f32 v9, v10, v9 :: v_dual_add_f32 v10, v17, v16
	v_dual_sub_f32 v2, v23, v26 :: v_dual_add_nc_u32 v15, 0x1760, v129
	v_add_nc_u32_e32 v16, 0x2750, v129
	ds_store_2addr_b64 v14, v[0:1], v[12:13] offset1:255
	ds_store_2addr_b64 v15, v[10:11], v[8:9] offset1:255
	ds_store_2addr_b64 v16, v[6:7], v[4:5] offset1:255
	ds_store_b64 v129, v[2:3] offset:14144
.LBB0_21:
	s_wait_alu 0xfffe
	s_or_b32 exec_lo, exec_lo, s1
	global_wb scope:SCOPE_SE
	s_wait_dscnt 0x0
	s_barrier_signal -1
	s_barrier_wait -1
	global_inv scope:SCOPE_SE
	s_and_b32 exec_lo, exec_lo, vcc_lo
	s_cbranch_execz .LBB0_23
; %bb.22:
	global_load_b64 v[0:1], v127, s[8:9]
	ds_load_b64 v[2:3], v129
	v_mad_co_u64_u32 v[6:7], null, s4, v128, 0
	s_mov_b32 s0, 0x125b8012
	s_mov_b32 s1, 0x3f425b80
	s_mul_u64 s[2:3], s[4:5], 0x348
	s_wait_loadcnt_dscnt 0x0
	v_mul_f32_e32 v4, v3, v1
	v_mul_f32_e32 v1, v2, v1
	s_delay_alu instid0(VALU_DEP_2) | instskip(NEXT) | instid1(VALU_DEP_2)
	v_fmac_f32_e32 v4, v2, v0
	v_fma_f32 v2, v0, v3, -v1
	s_delay_alu instid0(VALU_DEP_2) | instskip(NEXT) | instid1(VALU_DEP_2)
	v_cvt_f64_f32_e32 v[0:1], v4
	v_cvt_f64_f32_e32 v[2:3], v2
	v_mad_co_u64_u32 v[4:5], null, s6, v124, 0
	s_wait_alu 0xfffe
	s_delay_alu instid0(VALU_DEP_3) | instskip(NEXT) | instid1(VALU_DEP_3)
	v_mul_f64_e32 v[0:1], s[0:1], v[0:1]
	v_mul_f64_e32 v[2:3], s[0:1], v[2:3]
	s_delay_alu instid0(VALU_DEP_2) | instskip(NEXT) | instid1(VALU_DEP_2)
	v_cvt_f32_f64_e32 v0, v[0:1]
	v_cvt_f32_f64_e32 v1, v[2:3]
	v_dual_mov_b32 v3, v7 :: v_dual_mov_b32 v2, v5
	s_delay_alu instid0(VALU_DEP_1) | instskip(SKIP_1) | instid1(VALU_DEP_2)
	v_mad_co_u64_u32 v[7:8], null, s7, v124, v[2:3]
	v_mad_co_u64_u32 v[2:3], null, s5, v128, v[3:4]
	v_mov_b32_e32 v5, v7
	s_delay_alu instid0(VALU_DEP_2) | instskip(NEXT) | instid1(VALU_DEP_2)
	v_mov_b32_e32 v7, v2
	v_lshlrev_b64_e32 v[2:3], 3, v[4:5]
	s_delay_alu instid0(VALU_DEP_2) | instskip(NEXT) | instid1(VALU_DEP_2)
	v_lshlrev_b64_e32 v[4:5], 3, v[6:7]
	v_add_co_u32 v2, vcc_lo, s12, v2
	s_delay_alu instid0(VALU_DEP_3) | instskip(NEXT) | instid1(VALU_DEP_2)
	v_add_co_ci_u32_e32 v3, vcc_lo, s13, v3, vcc_lo
	v_add_co_u32 v4, vcc_lo, v2, v4
	s_wait_alu 0xfffd
	s_delay_alu instid0(VALU_DEP_2)
	v_add_co_ci_u32_e32 v5, vcc_lo, v3, v5, vcc_lo
	global_store_b64 v[4:5], v[0:1], off
	global_load_b64 v[6:7], v127, s[8:9] offset:840
	ds_load_2addr_b64 v[0:3], v127 offset0:105 offset1:210
	v_add_co_u32 v4, vcc_lo, v4, s2
	s_wait_alu 0xfffd
	v_add_co_ci_u32_e32 v5, vcc_lo, s3, v5, vcc_lo
	s_wait_loadcnt_dscnt 0x0
	v_mul_f32_e32 v8, v1, v7
	v_mul_f32_e32 v7, v0, v7
	s_delay_alu instid0(VALU_DEP_2) | instskip(NEXT) | instid1(VALU_DEP_2)
	v_fmac_f32_e32 v8, v0, v6
	v_fma_f32 v6, v6, v1, -v7
	s_delay_alu instid0(VALU_DEP_2) | instskip(NEXT) | instid1(VALU_DEP_2)
	v_cvt_f64_f32_e32 v[0:1], v8
	v_cvt_f64_f32_e32 v[6:7], v6
	s_delay_alu instid0(VALU_DEP_2) | instskip(NEXT) | instid1(VALU_DEP_2)
	v_mul_f64_e32 v[0:1], s[0:1], v[0:1]
	v_mul_f64_e32 v[6:7], s[0:1], v[6:7]
	s_delay_alu instid0(VALU_DEP_2) | instskip(NEXT) | instid1(VALU_DEP_2)
	v_cvt_f32_f64_e32 v0, v[0:1]
	v_cvt_f32_f64_e32 v1, v[6:7]
	global_store_b64 v[4:5], v[0:1], off
	global_load_b64 v[0:1], v127, s[8:9] offset:1680
	v_add_co_u32 v4, vcc_lo, v4, s2
	s_wait_alu 0xfffd
	v_add_co_ci_u32_e32 v5, vcc_lo, s3, v5, vcc_lo
	s_wait_loadcnt 0x0
	v_mul_f32_e32 v6, v3, v1
	v_mul_f32_e32 v1, v2, v1
	s_delay_alu instid0(VALU_DEP_2) | instskip(NEXT) | instid1(VALU_DEP_2)
	v_fmac_f32_e32 v6, v2, v0
	v_fma_f32 v2, v0, v3, -v1
	s_delay_alu instid0(VALU_DEP_2) | instskip(NEXT) | instid1(VALU_DEP_2)
	v_cvt_f64_f32_e32 v[0:1], v6
	v_cvt_f64_f32_e32 v[2:3], v2
	s_delay_alu instid0(VALU_DEP_2) | instskip(NEXT) | instid1(VALU_DEP_2)
	v_mul_f64_e32 v[0:1], s[0:1], v[0:1]
	v_mul_f64_e32 v[2:3], s[0:1], v[2:3]
	s_delay_alu instid0(VALU_DEP_2) | instskip(NEXT) | instid1(VALU_DEP_2)
	v_cvt_f32_f64_e32 v0, v[0:1]
	v_cvt_f32_f64_e32 v1, v[2:3]
	global_store_b64 v[4:5], v[0:1], off
	global_load_b64 v[6:7], v127, s[8:9] offset:2520
	v_add_nc_u32_e32 v0, 0x800, v127
	v_add_co_u32 v4, vcc_lo, v4, s2
	s_wait_alu 0xfffd
	v_add_co_ci_u32_e32 v5, vcc_lo, s3, v5, vcc_lo
	ds_load_2addr_b64 v[0:3], v0 offset0:59 offset1:164
	s_wait_loadcnt_dscnt 0x0
	v_mul_f32_e32 v8, v1, v7
	v_mul_f32_e32 v7, v0, v7
	s_delay_alu instid0(VALU_DEP_2) | instskip(NEXT) | instid1(VALU_DEP_2)
	v_fmac_f32_e32 v8, v0, v6
	v_fma_f32 v6, v6, v1, -v7
	s_delay_alu instid0(VALU_DEP_2) | instskip(NEXT) | instid1(VALU_DEP_2)
	v_cvt_f64_f32_e32 v[0:1], v8
	v_cvt_f64_f32_e32 v[6:7], v6
	s_delay_alu instid0(VALU_DEP_2) | instskip(NEXT) | instid1(VALU_DEP_2)
	v_mul_f64_e32 v[0:1], s[0:1], v[0:1]
	v_mul_f64_e32 v[6:7], s[0:1], v[6:7]
	s_delay_alu instid0(VALU_DEP_2) | instskip(NEXT) | instid1(VALU_DEP_2)
	v_cvt_f32_f64_e32 v0, v[0:1]
	v_cvt_f32_f64_e32 v1, v[6:7]
	global_store_b64 v[4:5], v[0:1], off
	global_load_b64 v[0:1], v127, s[8:9] offset:3360
	v_add_co_u32 v4, vcc_lo, v4, s2
	s_wait_alu 0xfffd
	v_add_co_ci_u32_e32 v5, vcc_lo, s3, v5, vcc_lo
	s_wait_loadcnt 0x0
	v_mul_f32_e32 v6, v3, v1
	v_mul_f32_e32 v1, v2, v1
	s_delay_alu instid0(VALU_DEP_2) | instskip(NEXT) | instid1(VALU_DEP_2)
	v_fmac_f32_e32 v6, v2, v0
	v_fma_f32 v2, v0, v3, -v1
	s_delay_alu instid0(VALU_DEP_2) | instskip(NEXT) | instid1(VALU_DEP_2)
	v_cvt_f64_f32_e32 v[0:1], v6
	v_cvt_f64_f32_e32 v[2:3], v2
	s_delay_alu instid0(VALU_DEP_2) | instskip(NEXT) | instid1(VALU_DEP_2)
	v_mul_f64_e32 v[0:1], s[0:1], v[0:1]
	v_mul_f64_e32 v[2:3], s[0:1], v[2:3]
	s_delay_alu instid0(VALU_DEP_2) | instskip(NEXT) | instid1(VALU_DEP_2)
	v_cvt_f32_f64_e32 v0, v[0:1]
	v_cvt_f32_f64_e32 v1, v[2:3]
	global_store_b64 v[4:5], v[0:1], off
	global_load_b64 v[6:7], v127, s[8:9] offset:4200
	v_add_nc_u32_e32 v0, 0x1000, v127
	v_add_co_u32 v4, vcc_lo, v4, s2
	s_wait_alu 0xfffd
	v_add_co_ci_u32_e32 v5, vcc_lo, s3, v5, vcc_lo
	ds_load_2addr_b64 v[0:3], v0 offset0:13 offset1:118
	;; [unrolled: 42-line block ×7, first 2 shown]
	s_wait_loadcnt_dscnt 0x0
	v_mul_f32_e32 v8, v1, v7
	v_mul_f32_e32 v7, v0, v7
	s_delay_alu instid0(VALU_DEP_2) | instskip(NEXT) | instid1(VALU_DEP_2)
	v_fmac_f32_e32 v8, v0, v6
	v_fma_f32 v6, v6, v1, -v7
	s_delay_alu instid0(VALU_DEP_2) | instskip(NEXT) | instid1(VALU_DEP_2)
	v_cvt_f64_f32_e32 v[0:1], v8
	v_cvt_f64_f32_e32 v[6:7], v6
	s_delay_alu instid0(VALU_DEP_2) | instskip(NEXT) | instid1(VALU_DEP_2)
	v_mul_f64_e32 v[0:1], s[0:1], v[0:1]
	v_mul_f64_e32 v[6:7], s[0:1], v[6:7]
	s_delay_alu instid0(VALU_DEP_2) | instskip(NEXT) | instid1(VALU_DEP_2)
	v_cvt_f32_f64_e32 v0, v[0:1]
	v_cvt_f32_f64_e32 v1, v[6:7]
	global_store_b64 v[4:5], v[0:1], off
	global_load_b64 v[0:1], v127, s[8:9] offset:13440
	s_wait_loadcnt 0x0
	v_mul_f32_e32 v6, v3, v1
	v_mul_f32_e32 v1, v2, v1
	s_delay_alu instid0(VALU_DEP_2) | instskip(NEXT) | instid1(VALU_DEP_2)
	v_fmac_f32_e32 v6, v2, v0
	v_fma_f32 v2, v0, v3, -v1
	s_delay_alu instid0(VALU_DEP_2) | instskip(NEXT) | instid1(VALU_DEP_2)
	v_cvt_f64_f32_e32 v[0:1], v6
	v_cvt_f64_f32_e32 v[2:3], v2
	s_delay_alu instid0(VALU_DEP_2) | instskip(NEXT) | instid1(VALU_DEP_2)
	v_mul_f64_e32 v[0:1], s[0:1], v[0:1]
	v_mul_f64_e32 v[2:3], s[0:1], v[2:3]
	s_delay_alu instid0(VALU_DEP_2) | instskip(NEXT) | instid1(VALU_DEP_2)
	v_cvt_f32_f64_e32 v0, v[0:1]
	v_cvt_f32_f64_e32 v1, v[2:3]
	v_add_co_u32 v2, vcc_lo, v4, s2
	s_wait_alu 0xfffd
	v_add_co_ci_u32_e32 v3, vcc_lo, s3, v5, vcc_lo
	global_store_b64 v[2:3], v[0:1], off
.LBB0_23:
	s_nop 0
	s_sendmsg sendmsg(MSG_DEALLOC_VGPRS)
	s_endpgm
	.section	.rodata,"a",@progbits
	.p2align	6, 0x0
	.amdhsa_kernel bluestein_single_fwd_len1785_dim1_sp_op_CI_CI
		.amdhsa_group_segment_fixed_size 14280
		.amdhsa_private_segment_fixed_size 0
		.amdhsa_kernarg_size 104
		.amdhsa_user_sgpr_count 2
		.amdhsa_user_sgpr_dispatch_ptr 0
		.amdhsa_user_sgpr_queue_ptr 0
		.amdhsa_user_sgpr_kernarg_segment_ptr 1
		.amdhsa_user_sgpr_dispatch_id 0
		.amdhsa_user_sgpr_private_segment_size 0
		.amdhsa_wavefront_size32 1
		.amdhsa_uses_dynamic_stack 0
		.amdhsa_enable_private_segment 0
		.amdhsa_system_sgpr_workgroup_id_x 1
		.amdhsa_system_sgpr_workgroup_id_y 0
		.amdhsa_system_sgpr_workgroup_id_z 0
		.amdhsa_system_sgpr_workgroup_info 0
		.amdhsa_system_vgpr_workitem_id 0
		.amdhsa_next_free_vgpr 227
		.amdhsa_next_free_sgpr 14
		.amdhsa_reserve_vcc 1
		.amdhsa_float_round_mode_32 0
		.amdhsa_float_round_mode_16_64 0
		.amdhsa_float_denorm_mode_32 3
		.amdhsa_float_denorm_mode_16_64 3
		.amdhsa_fp16_overflow 0
		.amdhsa_workgroup_processor_mode 1
		.amdhsa_memory_ordered 1
		.amdhsa_forward_progress 0
		.amdhsa_round_robin_scheduling 0
		.amdhsa_exception_fp_ieee_invalid_op 0
		.amdhsa_exception_fp_denorm_src 0
		.amdhsa_exception_fp_ieee_div_zero 0
		.amdhsa_exception_fp_ieee_overflow 0
		.amdhsa_exception_fp_ieee_underflow 0
		.amdhsa_exception_fp_ieee_inexact 0
		.amdhsa_exception_int_div_zero 0
	.end_amdhsa_kernel
	.text
.Lfunc_end0:
	.size	bluestein_single_fwd_len1785_dim1_sp_op_CI_CI, .Lfunc_end0-bluestein_single_fwd_len1785_dim1_sp_op_CI_CI
                                        ; -- End function
	.section	.AMDGPU.csdata,"",@progbits
; Kernel info:
; codeLenInByte = 25864
; NumSgprs: 16
; NumVgprs: 227
; ScratchSize: 0
; MemoryBound: 0
; FloatMode: 240
; IeeeMode: 1
; LDSByteSize: 14280 bytes/workgroup (compile time only)
; SGPRBlocks: 1
; VGPRBlocks: 28
; NumSGPRsForWavesPerEU: 16
; NumVGPRsForWavesPerEU: 227
; Occupancy: 6
; WaveLimiterHint : 1
; COMPUTE_PGM_RSRC2:SCRATCH_EN: 0
; COMPUTE_PGM_RSRC2:USER_SGPR: 2
; COMPUTE_PGM_RSRC2:TRAP_HANDLER: 0
; COMPUTE_PGM_RSRC2:TGID_X_EN: 1
; COMPUTE_PGM_RSRC2:TGID_Y_EN: 0
; COMPUTE_PGM_RSRC2:TGID_Z_EN: 0
; COMPUTE_PGM_RSRC2:TIDIG_COMP_CNT: 0
	.text
	.p2alignl 7, 3214868480
	.fill 96, 4, 3214868480
	.type	__hip_cuid_be51c811c1330b56,@object ; @__hip_cuid_be51c811c1330b56
	.section	.bss,"aw",@nobits
	.globl	__hip_cuid_be51c811c1330b56
__hip_cuid_be51c811c1330b56:
	.byte	0                               ; 0x0
	.size	__hip_cuid_be51c811c1330b56, 1

	.ident	"AMD clang version 19.0.0git (https://github.com/RadeonOpenCompute/llvm-project roc-6.4.0 25133 c7fe45cf4b819c5991fe208aaa96edf142730f1d)"
	.section	".note.GNU-stack","",@progbits
	.addrsig
	.addrsig_sym __hip_cuid_be51c811c1330b56
	.amdgpu_metadata
---
amdhsa.kernels:
  - .args:
      - .actual_access:  read_only
        .address_space:  global
        .offset:         0
        .size:           8
        .value_kind:     global_buffer
      - .actual_access:  read_only
        .address_space:  global
        .offset:         8
        .size:           8
        .value_kind:     global_buffer
      - .actual_access:  read_only
        .address_space:  global
        .offset:         16
        .size:           8
        .value_kind:     global_buffer
      - .actual_access:  read_only
        .address_space:  global
        .offset:         24
        .size:           8
        .value_kind:     global_buffer
      - .actual_access:  read_only
        .address_space:  global
        .offset:         32
        .size:           8
        .value_kind:     global_buffer
      - .offset:         40
        .size:           8
        .value_kind:     by_value
      - .address_space:  global
        .offset:         48
        .size:           8
        .value_kind:     global_buffer
      - .address_space:  global
        .offset:         56
        .size:           8
        .value_kind:     global_buffer
      - .address_space:  global
        .offset:         64
        .size:           8
        .value_kind:     global_buffer
      - .address_space:  global
        .offset:         72
        .size:           8
        .value_kind:     global_buffer
      - .offset:         80
        .size:           4
        .value_kind:     by_value
      - .address_space:  global
        .offset:         88
        .size:           8
        .value_kind:     global_buffer
      - .address_space:  global
        .offset:         96
        .size:           8
        .value_kind:     global_buffer
    .group_segment_fixed_size: 14280
    .kernarg_segment_align: 8
    .kernarg_segment_size: 104
    .language:       OpenCL C
    .language_version:
      - 2
      - 0
    .max_flat_workgroup_size: 119
    .name:           bluestein_single_fwd_len1785_dim1_sp_op_CI_CI
    .private_segment_fixed_size: 0
    .sgpr_count:     16
    .sgpr_spill_count: 0
    .symbol:         bluestein_single_fwd_len1785_dim1_sp_op_CI_CI.kd
    .uniform_work_group_size: 1
    .uses_dynamic_stack: false
    .vgpr_count:     227
    .vgpr_spill_count: 0
    .wavefront_size: 32
    .workgroup_processor_mode: 1
amdhsa.target:   amdgcn-amd-amdhsa--gfx1201
amdhsa.version:
  - 1
  - 2
...

	.end_amdgpu_metadata
